;; amdgpu-corpus repo=ROCm/rocFFT kind=compiled arch=gfx1030 opt=O3
	.text
	.amdgcn_target "amdgcn-amd-amdhsa--gfx1030"
	.amdhsa_code_object_version 6
	.protected	fft_rtc_fwd_len2250_factors_10_3_5_3_5_wgs_90_tpt_90_halfLds_half_op_CI_CI_unitstride_sbrr_dirReg ; -- Begin function fft_rtc_fwd_len2250_factors_10_3_5_3_5_wgs_90_tpt_90_halfLds_half_op_CI_CI_unitstride_sbrr_dirReg
	.globl	fft_rtc_fwd_len2250_factors_10_3_5_3_5_wgs_90_tpt_90_halfLds_half_op_CI_CI_unitstride_sbrr_dirReg
	.p2align	8
	.type	fft_rtc_fwd_len2250_factors_10_3_5_3_5_wgs_90_tpt_90_halfLds_half_op_CI_CI_unitstride_sbrr_dirReg,@function
fft_rtc_fwd_len2250_factors_10_3_5_3_5_wgs_90_tpt_90_halfLds_half_op_CI_CI_unitstride_sbrr_dirReg: ; @fft_rtc_fwd_len2250_factors_10_3_5_3_5_wgs_90_tpt_90_halfLds_half_op_CI_CI_unitstride_sbrr_dirReg
; %bb.0:
	s_clause 0x2
	s_load_dwordx4 s[12:15], s[4:5], 0x0
	s_load_dwordx4 s[8:11], s[4:5], 0x58
	;; [unrolled: 1-line block ×3, first 2 shown]
	v_mul_u32_u24_e32 v1, 0x2d9, v0
	v_mov_b32_e32 v7, 0
	v_mov_b32_e32 v5, 0
	;; [unrolled: 1-line block ×3, first 2 shown]
	v_add_nc_u32_sdwa v9, s6, v1 dst_sel:DWORD dst_unused:UNUSED_PAD src0_sel:DWORD src1_sel:WORD_1
	v_mov_b32_e32 v10, v7
	s_waitcnt lgkmcnt(0)
	v_cmp_lt_u64_e64 s0, s[14:15], 2
	s_and_b32 vcc_lo, exec_lo, s0
	s_cbranch_vccnz .LBB0_8
; %bb.1:
	s_load_dwordx2 s[0:1], s[4:5], 0x10
	v_mov_b32_e32 v5, 0
	v_mov_b32_e32 v6, 0
	s_add_u32 s2, s18, 8
	s_addc_u32 s3, s19, 0
	v_mov_b32_e32 v1, v5
	s_add_u32 s6, s16, 8
	v_mov_b32_e32 v2, v6
	s_addc_u32 s7, s17, 0
	s_mov_b64 s[22:23], 1
	s_waitcnt lgkmcnt(0)
	s_add_u32 s20, s0, 8
	s_addc_u32 s21, s1, 0
.LBB0_2:                                ; =>This Inner Loop Header: Depth=1
	s_load_dwordx2 s[24:25], s[20:21], 0x0
                                        ; implicit-def: $vgpr3_vgpr4
	s_mov_b32 s0, exec_lo
	s_waitcnt lgkmcnt(0)
	v_or_b32_e32 v8, s25, v10
	v_cmpx_ne_u64_e32 0, v[7:8]
	s_xor_b32 s1, exec_lo, s0
	s_cbranch_execz .LBB0_4
; %bb.3:                                ;   in Loop: Header=BB0_2 Depth=1
	v_cvt_f32_u32_e32 v3, s24
	v_cvt_f32_u32_e32 v4, s25
	s_sub_u32 s0, 0, s24
	s_subb_u32 s26, 0, s25
	v_fmac_f32_e32 v3, 0x4f800000, v4
	v_rcp_f32_e32 v3, v3
	v_mul_f32_e32 v3, 0x5f7ffffc, v3
	v_mul_f32_e32 v4, 0x2f800000, v3
	v_trunc_f32_e32 v4, v4
	v_fmac_f32_e32 v3, 0xcf800000, v4
	v_cvt_u32_f32_e32 v4, v4
	v_cvt_u32_f32_e32 v3, v3
	v_mul_lo_u32 v8, s0, v4
	v_mul_hi_u32 v11, s0, v3
	v_mul_lo_u32 v12, s26, v3
	v_add_nc_u32_e32 v8, v11, v8
	v_mul_lo_u32 v11, s0, v3
	v_add_nc_u32_e32 v8, v8, v12
	v_mul_hi_u32 v12, v3, v11
	v_mul_lo_u32 v13, v3, v8
	v_mul_hi_u32 v14, v3, v8
	v_mul_hi_u32 v15, v4, v11
	v_mul_lo_u32 v11, v4, v11
	v_mul_hi_u32 v16, v4, v8
	v_mul_lo_u32 v8, v4, v8
	v_add_co_u32 v12, vcc_lo, v12, v13
	v_add_co_ci_u32_e32 v13, vcc_lo, 0, v14, vcc_lo
	v_add_co_u32 v11, vcc_lo, v12, v11
	v_add_co_ci_u32_e32 v11, vcc_lo, v13, v15, vcc_lo
	v_add_co_ci_u32_e32 v12, vcc_lo, 0, v16, vcc_lo
	v_add_co_u32 v8, vcc_lo, v11, v8
	v_add_co_ci_u32_e32 v11, vcc_lo, 0, v12, vcc_lo
	v_add_co_u32 v3, vcc_lo, v3, v8
	v_add_co_ci_u32_e32 v4, vcc_lo, v4, v11, vcc_lo
	v_mul_hi_u32 v8, s0, v3
	v_mul_lo_u32 v12, s26, v3
	v_mul_lo_u32 v11, s0, v4
	v_add_nc_u32_e32 v8, v8, v11
	v_mul_lo_u32 v11, s0, v3
	v_add_nc_u32_e32 v8, v8, v12
	v_mul_hi_u32 v12, v3, v11
	v_mul_lo_u32 v13, v3, v8
	v_mul_hi_u32 v14, v3, v8
	v_mul_hi_u32 v15, v4, v11
	v_mul_lo_u32 v11, v4, v11
	v_mul_hi_u32 v16, v4, v8
	v_mul_lo_u32 v8, v4, v8
	v_add_co_u32 v12, vcc_lo, v12, v13
	v_add_co_ci_u32_e32 v13, vcc_lo, 0, v14, vcc_lo
	v_add_co_u32 v11, vcc_lo, v12, v11
	v_add_co_ci_u32_e32 v11, vcc_lo, v13, v15, vcc_lo
	v_add_co_ci_u32_e32 v12, vcc_lo, 0, v16, vcc_lo
	v_add_co_u32 v8, vcc_lo, v11, v8
	v_add_co_ci_u32_e32 v11, vcc_lo, 0, v12, vcc_lo
	v_add_co_u32 v8, vcc_lo, v3, v8
	v_add_co_ci_u32_e32 v13, vcc_lo, v4, v11, vcc_lo
	v_mul_hi_u32 v15, v9, v8
	v_mad_u64_u32 v[11:12], null, v10, v8, 0
	v_mad_u64_u32 v[3:4], null, v9, v13, 0
	;; [unrolled: 1-line block ×3, first 2 shown]
	v_add_co_u32 v3, vcc_lo, v15, v3
	v_add_co_ci_u32_e32 v4, vcc_lo, 0, v4, vcc_lo
	v_add_co_u32 v3, vcc_lo, v3, v11
	v_add_co_ci_u32_e32 v3, vcc_lo, v4, v12, vcc_lo
	v_add_co_ci_u32_e32 v4, vcc_lo, 0, v14, vcc_lo
	v_add_co_u32 v8, vcc_lo, v3, v13
	v_add_co_ci_u32_e32 v11, vcc_lo, 0, v4, vcc_lo
	v_mul_lo_u32 v12, s25, v8
	v_mad_u64_u32 v[3:4], null, s24, v8, 0
	v_mul_lo_u32 v13, s24, v11
	v_sub_co_u32 v3, vcc_lo, v9, v3
	v_add3_u32 v4, v4, v13, v12
	v_sub_nc_u32_e32 v12, v10, v4
	v_subrev_co_ci_u32_e64 v12, s0, s25, v12, vcc_lo
	v_add_co_u32 v13, s0, v8, 2
	v_add_co_ci_u32_e64 v14, s0, 0, v11, s0
	v_sub_co_u32 v15, s0, v3, s24
	v_sub_co_ci_u32_e32 v4, vcc_lo, v10, v4, vcc_lo
	v_subrev_co_ci_u32_e64 v12, s0, 0, v12, s0
	v_cmp_le_u32_e32 vcc_lo, s24, v15
	v_cmp_eq_u32_e64 s0, s25, v4
	v_cndmask_b32_e64 v15, 0, -1, vcc_lo
	v_cmp_le_u32_e32 vcc_lo, s25, v12
	v_cndmask_b32_e64 v16, 0, -1, vcc_lo
	v_cmp_le_u32_e32 vcc_lo, s24, v3
	;; [unrolled: 2-line block ×3, first 2 shown]
	v_cndmask_b32_e64 v17, 0, -1, vcc_lo
	v_cmp_eq_u32_e32 vcc_lo, s25, v12
	v_cndmask_b32_e64 v3, v17, v3, s0
	v_cndmask_b32_e32 v12, v16, v15, vcc_lo
	v_add_co_u32 v15, vcc_lo, v8, 1
	v_add_co_ci_u32_e32 v16, vcc_lo, 0, v11, vcc_lo
	v_cmp_ne_u32_e32 vcc_lo, 0, v12
	v_cndmask_b32_e32 v4, v16, v14, vcc_lo
	v_cndmask_b32_e32 v12, v15, v13, vcc_lo
	v_cmp_ne_u32_e32 vcc_lo, 0, v3
	v_cndmask_b32_e32 v4, v11, v4, vcc_lo
	v_cndmask_b32_e32 v3, v8, v12, vcc_lo
.LBB0_4:                                ;   in Loop: Header=BB0_2 Depth=1
	s_andn2_saveexec_b32 s0, s1
	s_cbranch_execz .LBB0_6
; %bb.5:                                ;   in Loop: Header=BB0_2 Depth=1
	v_cvt_f32_u32_e32 v3, s24
	s_sub_i32 s1, 0, s24
	v_rcp_iflag_f32_e32 v3, v3
	v_mul_f32_e32 v3, 0x4f7ffffe, v3
	v_cvt_u32_f32_e32 v3, v3
	v_mul_lo_u32 v4, s1, v3
	v_mul_hi_u32 v4, v3, v4
	v_add_nc_u32_e32 v3, v3, v4
	v_mul_hi_u32 v3, v9, v3
	v_mul_lo_u32 v4, v3, s24
	v_add_nc_u32_e32 v8, 1, v3
	v_sub_nc_u32_e32 v4, v9, v4
	v_subrev_nc_u32_e32 v11, s24, v4
	v_cmp_le_u32_e32 vcc_lo, s24, v4
	v_cndmask_b32_e32 v4, v4, v11, vcc_lo
	v_cndmask_b32_e32 v3, v3, v8, vcc_lo
	v_cmp_le_u32_e32 vcc_lo, s24, v4
	v_add_nc_u32_e32 v8, 1, v3
	v_mov_b32_e32 v4, v7
	v_cndmask_b32_e32 v3, v3, v8, vcc_lo
.LBB0_6:                                ;   in Loop: Header=BB0_2 Depth=1
	s_or_b32 exec_lo, exec_lo, s0
	v_mul_lo_u32 v8, v4, s24
	v_mul_lo_u32 v13, v3, s25
	s_load_dwordx2 s[0:1], s[6:7], 0x0
	v_mad_u64_u32 v[11:12], null, v3, s24, 0
	s_load_dwordx2 s[24:25], s[2:3], 0x0
	s_add_u32 s22, s22, 1
	s_addc_u32 s23, s23, 0
	s_add_u32 s2, s2, 8
	s_addc_u32 s3, s3, 0
	s_add_u32 s6, s6, 8
	v_add3_u32 v8, v12, v13, v8
	v_sub_co_u32 v9, vcc_lo, v9, v11
	s_addc_u32 s7, s7, 0
	s_add_u32 s20, s20, 8
	v_sub_co_ci_u32_e32 v8, vcc_lo, v10, v8, vcc_lo
	s_addc_u32 s21, s21, 0
	s_waitcnt lgkmcnt(0)
	v_mul_lo_u32 v10, s0, v8
	v_mul_lo_u32 v11, s1, v9
	v_mad_u64_u32 v[5:6], null, s0, v9, v[5:6]
	v_mul_lo_u32 v8, s24, v8
	v_mul_lo_u32 v12, s25, v9
	v_mad_u64_u32 v[1:2], null, s24, v9, v[1:2]
	v_cmp_ge_u64_e64 s0, s[22:23], s[14:15]
	v_add3_u32 v6, v11, v6, v10
	v_add3_u32 v2, v12, v2, v8
	s_and_b32 vcc_lo, exec_lo, s0
	s_cbranch_vccnz .LBB0_9
; %bb.7:                                ;   in Loop: Header=BB0_2 Depth=1
	v_mov_b32_e32 v10, v4
	v_mov_b32_e32 v9, v3
	s_branch .LBB0_2
.LBB0_8:
	v_mov_b32_e32 v1, v5
	v_mov_b32_e32 v3, v9
	;; [unrolled: 1-line block ×4, first 2 shown]
.LBB0_9:
	s_load_dwordx2 s[0:1], s[4:5], 0x28
	v_mul_hi_u32 v13, 0x2d82d83, v0
	s_lshl_b64 s[4:5], s[14:15], 3
                                        ; implicit-def: $vgpr15
	s_add_u32 s2, s18, s4
	s_addc_u32 s3, s19, s5
	s_waitcnt lgkmcnt(0)
	v_cmp_gt_u64_e32 vcc_lo, s[0:1], v[3:4]
	v_cmp_le_u64_e64 s0, s[0:1], v[3:4]
	s_and_saveexec_b32 s1, s0
	s_xor_b32 s0, exec_lo, s1
; %bb.10:
	v_mul_u32_u24_e32 v5, 0x5a, v13
                                        ; implicit-def: $vgpr13
	v_sub_nc_u32_e32 v15, v0, v5
                                        ; implicit-def: $vgpr0
                                        ; implicit-def: $vgpr5_vgpr6
; %bb.11:
	s_or_saveexec_b32 s1, s0
	s_load_dwordx2 s[2:3], s[2:3], 0x0
                                        ; implicit-def: $vgpr23
                                        ; implicit-def: $vgpr28
                                        ; implicit-def: $vgpr20
                                        ; implicit-def: $vgpr27
                                        ; implicit-def: $vgpr21
                                        ; implicit-def: $vgpr24
                                        ; implicit-def: $vgpr19
                                        ; implicit-def: $vgpr26
                                        ; implicit-def: $vgpr16
                                        ; implicit-def: $vgpr46
                                        ; implicit-def: $vgpr8
                                        ; implicit-def: $vgpr36
                                        ; implicit-def: $vgpr9
                                        ; implicit-def: $vgpr33
                                        ; implicit-def: $vgpr10
                                        ; implicit-def: $vgpr35
                                        ; implicit-def: $vgpr11
                                        ; implicit-def: $vgpr34
                                        ; implicit-def: $vgpr7
                                        ; implicit-def: $vgpr48
                                        ; implicit-def: $vgpr54
                                        ; implicit-def: $vgpr42
                                        ; implicit-def: $vgpr55
                                        ; implicit-def: $vgpr45
                                        ; implicit-def: $vgpr56
                                        ; implicit-def: $vgpr43
                                        ; implicit-def: $vgpr57
                                        ; implicit-def: $vgpr44
                                        ; implicit-def: $vgpr12
                                        ; implicit-def: $vgpr47
                                        ; implicit-def: $vgpr18
                                        ; implicit-def: $vgpr17
                                        ; implicit-def: $vgpr22
                                        ; implicit-def: $vgpr25
                                        ; implicit-def: $vgpr37
                                        ; implicit-def: $vgpr39
                                        ; implicit-def: $vgpr38
                                        ; implicit-def: $vgpr41
                                        ; implicit-def: $vgpr40
                                        ; implicit-def: $vgpr50
                                        ; implicit-def: $vgpr29
                                        ; implicit-def: $vgpr30
                                        ; implicit-def: $vgpr32
                                        ; implicit-def: $vgpr31
                                        ; implicit-def: $vgpr49
	s_xor_b32 exec_lo, exec_lo, s1
	s_cbranch_execz .LBB0_15
; %bb.12:
	s_add_u32 s4, s16, s4
	s_addc_u32 s5, s17, s5
	v_lshlrev_b64 v[5:6], 2, v[5:6]
	s_load_dwordx2 s[4:5], s[4:5], 0x0
                                        ; implicit-def: $vgpr37
                                        ; implicit-def: $vgpr25
                                        ; implicit-def: $vgpr22
                                        ; implicit-def: $vgpr17
                                        ; implicit-def: $vgpr18
                                        ; implicit-def: $vgpr46
                                        ; implicit-def: $vgpr16
                                        ; implicit-def: $vgpr26
                                        ; implicit-def: $vgpr19
                                        ; implicit-def: $vgpr24
                                        ; implicit-def: $vgpr21
                                        ; implicit-def: $vgpr27
                                        ; implicit-def: $vgpr20
                                        ; implicit-def: $vgpr28
                                        ; implicit-def: $vgpr23
	s_waitcnt lgkmcnt(0)
	v_mul_lo_u32 v9, s5, v3
	v_mul_lo_u32 v10, s4, v4
	v_mad_u64_u32 v[7:8], null, s4, v3, 0
	s_mov_b32 s4, exec_lo
	v_add3_u32 v8, v8, v10, v9
	v_mul_u32_u24_e32 v9, 0x5a, v13
	v_lshlrev_b64 v[7:8], 2, v[7:8]
	v_sub_nc_u32_e32 v15, v0, v9
	v_add_co_u32 v0, s0, s8, v7
	v_add_co_ci_u32_e64 v7, s0, s9, v8, s0
	v_lshlrev_b32_e32 v8, 2, v15
	v_add_co_u32 v0, s0, v0, v5
	v_add_co_ci_u32_e64 v6, s0, v7, v6, s0
	v_add_co_u32 v5, s0, v0, v8
	v_add_co_ci_u32_e64 v6, s0, 0, v6, s0
	;; [unrolled: 2-line block ×5, first 2 shown]
	v_add_co_u32 v13, s0, 0x2000, v5
	global_load_dword v47, v[5:6], off
	v_add_co_ci_u32_e64 v14, s0, 0, v6, s0
	s_clause 0x12
	global_load_dword v43, v[7:8], off offset:1552
	global_load_dword v42, v[11:12], off offset:1056
	;; [unrolled: 1-line block ×19, first 2 shown]
	v_cmpx_gt_u32_e32 45, v15
	s_cbranch_execz .LBB0_14
; %bb.13:
	s_clause 0x9
	global_load_dword v46, v[5:6], off offset:720
	global_load_dword v26, v[7:8], off offset:472
	;; [unrolled: 1-line block ×10, first 2 shown]
	s_waitcnt vmcnt(9)
	v_lshrrev_b32_e32 v16, 16, v46
	s_waitcnt vmcnt(8)
	v_lshrrev_b32_e32 v19, 16, v26
	;; [unrolled: 2-line block ×5, first 2 shown]
.LBB0_14:
	s_or_b32 exec_lo, exec_lo, s4
	s_waitcnt vmcnt(19)
	v_lshrrev_b32_e32 v12, 16, v47
	s_waitcnt vmcnt(13)
	v_lshrrev_b32_e32 v57, 16, v44
	v_lshrrev_b32_e32 v56, 16, v43
	s_waitcnt vmcnt(6)
	v_lshrrev_b32_e32 v55, 16, v45
	v_lshrrev_b32_e32 v54, 16, v42
	;; [unrolled: 1-line block ×4, first 2 shown]
	s_waitcnt vmcnt(3)
	v_lshrrev_b32_e32 v10, 16, v35
	v_lshrrev_b32_e32 v9, 16, v33
	s_waitcnt vmcnt(0)
	v_lshrrev_b32_e32 v8, 16, v36
.LBB0_15:
	s_or_b32 exec_lo, exec_lo, s1
	v_add_f16_e32 v0, v45, v43
	v_add_f16_e32 v5, v44, v47
	v_sub_f16_e32 v6, v57, v54
	v_sub_f16_e32 v13, v56, v55
	;; [unrolled: 1-line block ×3, first 2 shown]
	v_fma_f16 v0, -0.5, v0, v47
	v_sub_f16_e32 v51, v42, v45
	v_add_f16_e32 v52, v42, v44
	v_add_f16_e32 v5, v43, v5
	v_sub_f16_e32 v53, v43, v44
	v_fmamk_f16 v58, v6, 0x3b9c, v0
	v_fmac_f16_e32 v0, 0xbb9c, v6
	v_fmac_f16_e32 v47, -0.5, v52
	v_add_f16_e32 v14, v51, v14
	v_add_f16_e32 v5, v45, v5
	v_fmac_f16_e32 v58, 0x38b4, v13
	v_fmac_f16_e32 v0, 0xb8b4, v13
	v_sub_f16_e32 v52, v45, v42
	v_fmamk_f16 v51, v13, 0xbb9c, v47
	v_add_f16_e32 v59, v42, v5
	v_fmac_f16_e32 v58, 0x34f2, v14
	v_fmac_f16_e32 v0, 0x34f2, v14
	v_add_f16_e32 v5, v52, v53
	v_fmac_f16_e32 v47, 0x3b9c, v13
	v_pk_add_f16 v13, v40, v41 neg_lo:[0,1] neg_hi:[0,1]
	v_pk_add_f16 v14, v38, v39 neg_lo:[0,1] neg_hi:[0,1]
	v_add_f16_e32 v52, v40, v50
	v_add_f16_e32 v53, v39, v41
	v_pk_add_f16 v60, v40, v38 neg_lo:[0,1] neg_hi:[0,1]
	v_fmac_f16_e32 v51, 0x38b4, v6
	v_pk_add_f16 v13, v14, v13
	v_fmac_f16_e32 v47, 0xb8b4, v6
	v_add_f16_e32 v6, v41, v52
	v_fma_f16 v14, -0.5, v53, v50
	v_lshrrev_b32_e32 v52, 16, v60
	v_pk_add_f16 v61, v41, v39 neg_lo:[0,1] neg_hi:[0,1]
	v_fmac_f16_e32 v51, 0x34f2, v5
	v_fmac_f16_e32 v47, 0x34f2, v5
	v_add_f16_e32 v53, v39, v6
	v_fmamk_f16 v62, v52, 0x3b9c, v14
	v_fmac_f16_e32 v14, 0xbb9c, v52
	v_pk_add_f16 v52, v38, v40
	v_bfi_b32 v13, 0xffff, v13, v61
	v_lshrrev_b32_e32 v6, 16, v50
	v_add_f16_sdwa v5, v39, v41 dst_sel:DWORD dst_unused:UNUSED_PAD src0_sel:WORD_1 src1_sel:WORD_1
	v_pk_add_f16 v63, v41, v40 neg_lo:[0,1] neg_hi:[0,1]
	v_pk_add_f16 v64, v39, v38 neg_lo:[0,1] neg_hi:[0,1]
	v_pk_fma_f16 v50, v52, 0.5, v50 op_sel_hi:[1,0,1] neg_lo:[1,0,0] neg_hi:[1,0,0]
	v_pk_mul_f16 v52, 0x3b9c, v61 op_sel_hi:[0,1]
	v_pk_mul_f16 v13, 0x38b434f2, v13
	v_fma_f16 v5, -0.5, v5, v6
	v_pk_add_f16 v63, v64, v63
	v_sub_f16_sdwa v65, v40, v41 dst_sel:DWORD dst_unused:UNUSED_PAD src0_sel:WORD_1 src1_sel:WORD_1
	v_pk_add_f16 v64, v52, v50 op_sel:[1,0] op_sel_hi:[0,1]
	v_pk_add_f16 v50, v50, v52 op_sel:[0,1] op_sel_hi:[1,0] neg_lo:[0,1] neg_hi:[0,1]
	v_pk_mul_f16 v52, 0x38b4, v60 op_sel_hi:[0,1]
	v_sub_f16_sdwa v66, v38, v39 dst_sel:DWORD dst_unused:UNUSED_PAD src0_sel:WORD_1 src1_sel:WORD_1
	v_add_f16_sdwa v62, v13, v62 dst_sel:DWORD dst_unused:UNUSED_PAD src0_sel:WORD_1 src1_sel:DWORD
	v_fmamk_f16 v75, v60, 0xbb9c, v5
	v_sub_f16_sdwa v14, v14, v13 dst_sel:DWORD dst_unused:UNUSED_PAD src0_sel:DWORD src1_sel:WORD_1
	v_pk_add_f16 v50, v52, v50 op_sel:[1,0] op_sel_hi:[0,1]
	v_pk_add_f16 v52, v64, v52 op_sel:[0,1] op_sel_hi:[1,0] neg_lo:[0,1] neg_hi:[0,1]
	v_add_f16_e32 v65, v66, v65
	v_fmac_f16_e32 v75, 0xb8b4, v61
	v_add_f16_e32 v77, v13, v62
	v_pk_fma_f16 v78, 0x34f2, v63, v50 op_sel_hi:[0,1,1]
	v_pk_fma_f16 v76, 0x34f2, v63, v52 op_sel_hi:[0,1,1]
	v_add_f16_e32 v53, v38, v53
	v_fmac_f16_e32 v75, 0x34f2, v65
	v_fmac_f16_e32 v5, 0x3b9c, v60
	v_mul_f16_e32 v60, 0x3a79, v77
	v_add_f16_e32 v74, v13, v14
	v_mul_f16_e32 v13, 0x34f2, v78
	v_lshrrev_b32_e32 v14, 16, v76
	v_mul_f16_e32 v50, 0x34f2, v76
	v_lshrrev_b32_e32 v52, 16, v78
	v_fmac_f16_e32 v5, 0x38b4, v61
	v_fmac_f16_e32 v60, 0x38b4, v75
	v_add_f16_e32 v61, v53, v59
	v_fmac_f16_e32 v13, 0x3b9c, v14
	v_fma_f16 v50, v52, 0x3b9c, -v50
	v_sub_f16_e32 v52, v59, v53
	v_sub_f16_e32 v53, v34, v35
	;; [unrolled: 1-line block ×3, first 2 shown]
	v_fmac_f16_e32 v5, 0x34f2, v65
	v_add_f16_e32 v14, v58, v60
	v_sub_f16_e32 v58, v58, v60
	v_add_f16_e32 v60, v51, v13
	v_sub_f16_e32 v13, v51, v13
	v_mul_f16_e32 v51, 0x3a79, v74
	v_add_f16_e32 v53, v59, v53
	v_add_f16_e32 v59, v47, v50
	v_mul_u32_u24_e32 v64, 10, v15
	v_pack_b32_f16 v14, v61, v14
	v_fma_f16 v51, v5, 0x38b4, -v51
	v_pack_b32_f16 v13, v58, v13
	v_pack_b32_f16 v59, v60, v59
	v_lshl_add_u32 v79, v64, 1, 0
	v_pk_add_f16 v58, v32, v29 neg_lo:[0,1] neg_hi:[0,1]
	v_add_f16_e32 v60, v0, v51
	v_add_f16_e32 v62, v33, v35
	;; [unrolled: 1-line block ×3, first 2 shown]
	ds_write2_b32 v79, v14, v59 offset1:1
	v_pk_add_f16 v14, v30, v31
	v_pack_b32_f16 v52, v60, v52
	v_sub_f16_e32 v59, v35, v34
	v_sub_f16_e32 v60, v33, v36
	v_pk_mul_f16 v64, 0x3b9c, v58 op_sel_hi:[0,1]
	v_pk_fma_f16 v14, v14, 0.5, v49 op_sel_hi:[1,0,1] neg_lo:[1,0,0] neg_hi:[1,0,0]
	v_pk_add_f16 v67, v31, v30 neg_lo:[0,1] neg_hi:[0,1]
	v_fma_f16 v62, -0.5, v62, v48
	v_add_f16_e32 v61, v34, v48
	v_fmac_f16_e32 v48, -0.5, v63
	v_pk_add_f16 v63, v32, v31 neg_lo:[0,1] neg_hi:[0,1]
	v_sub_f16_e32 v65, v10, v9
	v_pk_add_f16 v66, v29, v30 neg_lo:[0,1] neg_hi:[0,1]
	v_add_f16_e32 v59, v60, v59
	v_pk_add_f16 v60, v14, v64 op_sel:[0,1] op_sel_hi:[1,0] neg_lo:[0,1] neg_hi:[0,1]
	v_pk_mul_f16 v70, 0x38b4, v67 op_sel_hi:[0,1]
	v_pk_add_f16 v14, v64, v14 op_sel:[1,0] op_sel_hi:[0,1]
	v_fmamk_f16 v68, v65, 0xbb9c, v48
	v_sub_f16_e32 v69, v11, v8
	v_fmac_f16_e32 v48, 0x3b9c, v65
	v_pk_add_f16 v63, v66, v63
	v_pk_add_f16 v60, v70, v60 op_sel:[1,0] op_sel_hi:[0,1]
	v_pk_add_f16 v14, v14, v70 op_sel:[0,1] op_sel_hi:[1,0] neg_lo:[0,1] neg_hi:[0,1]
	v_fmac_f16_e32 v68, 0x38b4, v69
	v_fmac_f16_e32 v48, 0xb8b4, v69
	ds_write2_b32 v79, v52, v13 offset0:2 offset1:3
	v_pk_fma_f16 v83, 0x34f2, v63, v60 op_sel_hi:[0,1,1]
	v_pk_fma_f16 v80, 0x34f2, v63, v14 op_sel_hi:[0,1,1]
	v_pk_add_f16 v13, v31, v32 neg_lo:[0,1] neg_hi:[0,1]
	v_pk_add_f16 v14, v30, v29 neg_lo:[0,1] neg_hi:[0,1]
	v_fmac_f16_e32 v68, 0x34f2, v59
	v_fmac_f16_e32 v48, 0x34f2, v59
	v_mul_f16_e32 v52, 0x34f2, v83
	v_lshrrev_b32_e32 v59, 16, v80
	v_mul_f16_e32 v60, 0x34f2, v80
	v_lshrrev_b32_e32 v63, 16, v83
	v_sub_f16_sdwa v64, v31, v32 dst_sel:DWORD dst_unused:UNUSED_PAD src0_sel:WORD_1 src1_sel:WORD_1
	v_sub_f16_sdwa v66, v30, v29 dst_sel:DWORD dst_unused:UNUSED_PAD src0_sel:WORD_1 src1_sel:WORD_1
	v_pk_add_f16 v13, v14, v13
	v_add_f16_e32 v14, v29, v32
	v_fmac_f16_e32 v52, 0x3b9c, v59
	v_fma_f16 v59, v63, 0x3b9c, -v60
	v_add_f16_e32 v60, v66, v64
	v_bfi_b32 v13, 0xffff, v13, v58
	v_fma_f16 v14, -0.5, v14, v49
	v_lshrrev_b32_e32 v87, 16, v49
	v_add_f16_sdwa v64, v29, v32 dst_sel:DWORD dst_unused:UNUSED_PAD src0_sel:WORD_1 src1_sel:WORD_1
	v_lshrrev_b32_e32 v66, 16, v67
	v_add_f16_e32 v49, v31, v49
	v_pk_mul_f16 v13, 0x38b434f2, v13
	v_add_f16_e32 v61, v35, v61
	v_fma_f16 v84, -0.5, v64, v87
	v_fmamk_f16 v64, v66, 0x3b9c, v14
	v_fmac_f16_e32 v14, 0xbb9c, v66
	v_add_f16_e32 v49, v32, v49
	v_fmamk_f16 v70, v69, 0x3b9c, v62
	v_fmamk_f16 v85, v67, 0xbb9c, v84
	v_add_f16_sdwa v64, v13, v64 dst_sel:DWORD dst_unused:UNUSED_PAD src0_sel:WORD_1 src1_sel:DWORD
	v_fmac_f16_e32 v84, 0x3b9c, v67
	v_sub_f16_sdwa v14, v14, v13 dst_sel:DWORD dst_unused:UNUSED_PAD src0_sel:DWORD src1_sel:WORD_1
	v_add_f16_e32 v49, v29, v49
	v_fmac_f16_e32 v85, 0xb8b4, v58
	v_add_f16_e32 v89, v13, v64
	v_fmac_f16_e32 v62, 0xbb9c, v69
	v_fmac_f16_e32 v84, 0x38b4, v58
	v_add_f16_e32 v86, v13, v14
	v_add_f16_e32 v61, v33, v61
	v_fmac_f16_e32 v70, 0x38b4, v65
	v_fmac_f16_e32 v85, 0x34f2, v60
	v_mul_f16_e32 v13, 0x3a79, v89
	v_add_f16_e32 v14, v30, v49
	v_fmac_f16_e32 v62, 0xb8b4, v65
	v_fmac_f16_e32 v84, 0x34f2, v60
	v_mul_f16_e32 v49, 0x3a79, v86
	v_add_f16_e32 v61, v36, v61
	v_fmac_f16_e32 v70, 0x34f2, v53
	v_fmac_f16_e32 v13, 0x38b4, v85
	;; [unrolled: 1-line block ×3, first 2 shown]
	v_fma_f16 v53, v84, 0x38b4, -v49
	v_add_f16_e32 v63, v68, v52
	v_add_f16_e32 v58, v48, v59
	;; [unrolled: 1-line block ×4, first 2 shown]
	v_sub_f16_e32 v13, v70, v13
	v_sub_f16_e32 v52, v68, v52
	;; [unrolled: 1-line block ×3, first 2 shown]
	v_add_f16_e32 v61, v62, v53
	v_pack_b32_f16 v58, v63, v58
	v_pack_b32_f16 v60, v60, v49
	;; [unrolled: 1-line block ×3, first 2 shown]
	v_sub_f16_e32 v13, v47, v50
	v_pack_b32_f16 v61, v61, v14
	v_add_f16_e32 v14, v27, v24
	v_pk_add_f16 v47, v25, v22 neg_lo:[0,1] neg_hi:[0,1]
	v_pk_add_f16 v50, v17, v18 neg_lo:[0,1] neg_hi:[0,1]
	v_sub_f16_e32 v51, v0, v51
	v_pk_add_f16 v64, v22, v18 neg_lo:[0,1] neg_hi:[0,1]
	v_fma_f16 v49, -0.5, v14, v46
	v_add_f16_e32 v14, v18, v22
	v_pk_add_f16 v0, v50, v47
	v_pk_add_f16 v50, v25, v17 neg_lo:[0,1] neg_hi:[0,1]
	v_sub_f16_e32 v47, v19, v23
	v_lshrrev_b32_e32 v93, 16, v37
	v_fma_f16 v14, -0.5, v14, v37
	v_bfi_b32 v67, 0xffff, v0, v64
	v_lshrrev_b32_e32 v66, 16, v50
	v_sub_f16_e32 v52, v48, v59
	v_sub_f16_e32 v59, v26, v24
	;; [unrolled: 1-line block ×3, first 2 shown]
	v_pk_mul_f16 v67, 0x38b434f2, v67
	v_fmamk_f16 v68, v66, 0x3b9c, v14
	v_fmac_f16_e32 v14, 0xbb9c, v66
	v_fmamk_f16 v0, v47, 0x3b9c, v49
	v_fmac_f16_e32 v49, 0xbb9c, v47
	v_sub_f16_e32 v48, v21, v20
	v_add_f16_e32 v59, v65, v59
	v_sub_f16_sdwa v14, v14, v67 dst_sel:DWORD dst_unused:UNUSED_PAD src0_sel:DWORD src1_sel:WORD_1
	v_add_f16_sdwa v65, v67, v68 dst_sel:DWORD dst_unused:UNUSED_PAD src0_sel:WORD_1 src1_sel:DWORD
	v_sub_f16_e32 v53, v62, v53
	v_fmac_f16_e32 v0, 0x38b4, v48
	v_fmac_f16_e32 v49, 0xb8b4, v48
	v_add_f16_e32 v88, v67, v14
	v_add_f16_sdwa v14, v18, v22 dst_sel:DWORD dst_unused:UNUSED_PAD src0_sel:WORD_1 src1_sel:WORD_1
	v_pk_add_f16 v62, v17, v25
	v_fmac_f16_e32 v0, 0x34f2, v59
	v_fmac_f16_e32 v49, 0x34f2, v59
	v_add_f16_e32 v90, v67, v65
	v_fma_f16 v91, -0.5, v14, v93
	v_sub_f16_sdwa v59, v25, v22 dst_sel:DWORD dst_unused:UNUSED_PAD src0_sel:WORD_1 src1_sel:WORD_1
	v_sub_f16_sdwa v65, v17, v18 dst_sel:DWORD dst_unused:UNUSED_PAD src0_sel:WORD_1 src1_sel:WORD_1
	v_pk_add_f16 v66, v22, v25 neg_lo:[0,1] neg_hi:[0,1]
	v_pk_add_f16 v14, v18, v17 neg_lo:[0,1] neg_hi:[0,1]
	v_fmamk_f16 v92, v50, 0xbb9c, v91
	v_fmac_f16_e32 v91, 0x3b9c, v50
	v_pk_fma_f16 v62, v62, 0.5, v37 op_sel_hi:[1,0,1] neg_lo:[1,0,0] neg_hi:[1,0,0]
	v_pk_mul_f16 v67, 0x3b9c, v64 op_sel_hi:[0,1]
	v_add_f16_e32 v37, v25, v37
	v_fmac_f16_e32 v92, 0xb8b4, v64
	v_fmac_f16_e32 v91, 0x38b4, v64
	v_add_f16_e32 v64, v26, v46
	v_add_f16_e32 v59, v65, v59
	v_pk_add_f16 v14, v14, v66
	v_pack_b32_f16 v66, v13, v51
	v_add_f16_e32 v37, v22, v37
	v_add_f16_e32 v13, v24, v64
	v_pk_add_f16 v65, v67, v62 op_sel:[1,0] op_sel_hi:[0,1]
	v_pk_mul_f16 v50, 0x38b4, v50 op_sel_hi:[0,1]
	v_pk_add_f16 v62, v62, v67 op_sel:[0,1] op_sel_hi:[1,0] neg_lo:[0,1] neg_hi:[0,1]
	v_pack_b32_f16 v64, v52, v53
	v_fmac_f16_e32 v92, 0x34f2, v59
	v_fmac_f16_e32 v91, 0x34f2, v59
	v_add_f16_e32 v13, v27, v13
	v_mul_f16_e32 v51, 0x3a79, v88
	v_add_f16_e32 v37, v18, v37
	v_mul_f16_e32 v52, 0x3a79, v90
	v_pk_add_f16 v65, v65, v50 op_sel:[0,1] op_sel_hi:[1,0] neg_lo:[0,1] neg_hi:[0,1]
	v_pk_add_f16 v62, v50, v62 op_sel:[1,0] op_sel_hi:[0,1]
	v_add_f16_e32 v50, v28, v13
	v_fma_f16 v53, v91, 0x38b4, -v51
	v_add_f16_e32 v51, v17, v37
	v_fmac_f16_e32 v52, 0x38b4, v92
	v_add_nc_u32_e32 v81, 0x708, v79
	v_add_nc_u32_e32 v82, 0x710, v79
	v_pk_fma_f16 v94, 0x34f2, v14, v65 op_sel_hi:[0,1,1]
	v_pk_fma_f16 v95, 0x34f2, v14, v62 op_sel_hi:[0,1,1]
	v_cmp_gt_u32_e64 s1, 45, v15
	v_add_f16_e32 v37, v49, v53
	v_sub_f16_e32 v14, v50, v51
	v_sub_f16_e32 v13, v0, v52
	ds_write2_b32 v81, v60, v58 offset1:1
	ds_write2_b32 v82, v61, v63 offset1:1
	ds_write_b32 v79, v66 offset:16
	ds_write_b32 v79, v64 offset:1816
	s_and_saveexec_b32 s0, s1
	s_cbranch_execz .LBB0_17
; %bb.16:
	v_add_f16_e32 v58, v28, v26
	v_sub_f16_e32 v49, v49, v53
	v_sub_f16_e32 v53, v24, v26
	v_lshrrev_b32_e32 v59, 16, v95
	v_mul_f16_e32 v60, 0x34f2, v94
	v_fmac_f16_e32 v46, -0.5, v58
	v_sub_f16_e32 v58, v27, v28
	v_lshrrev_b32_e32 v62, 16, v94
	v_add_f16_e32 v0, v0, v52
	v_add_f16_e32 v50, v51, v50
	v_fmamk_f16 v61, v48, 0x3b9c, v46
	v_fmac_f16_e32 v46, 0xbb9c, v48
	v_mul_f16_e32 v48, 0x34f2, v95
	v_add_f16_e32 v53, v58, v53
	v_add_nc_u32_e32 v51, 0xe10, v79
	v_fmac_f16_e32 v61, 0xb8b4, v47
	v_fmac_f16_e32 v46, 0x38b4, v47
	v_fma_f16 v47, v59, 0x3b9c, -v60
	v_fmac_f16_e32 v48, 0x3b9c, v62
	v_pack_b32_f16 v0, v50, v0
	v_fmac_f16_e32 v61, 0x34f2, v53
	v_fmac_f16_e32 v46, 0x34f2, v53
	v_add_nc_u32_e32 v52, 0xe18, v79
	v_add_f16_e32 v53, v61, v47
	v_add_f16_e32 v58, v46, v48
	v_sub_f16_e32 v46, v46, v48
	v_sub_f16_e32 v47, v61, v47
	v_perm_b32 v48, v14, v37, 0x5040100
	v_pack_b32_f16 v50, v58, v53
	v_perm_b32 v46, v46, v13, 0x5040100
	v_pack_b32_f16 v47, v47, v49
	ds_write2_b32 v51, v0, v50 offset1:1
	ds_write2_b32 v52, v48, v46 offset1:1
	ds_write_b32 v79, v47 offset:3616
.LBB0_17:
	s_or_b32 exec_lo, exec_lo, s0
	v_mad_i32_i24 v0, 0xffffffee, v15, v79
	s_waitcnt lgkmcnt(0)
	s_barrier
	buffer_gl0_inv
	v_cmp_gt_u32_e64 s0, 30, v15
	ds_read_u16 v46, v0
	ds_read_u16 v47, v0 offset:180
	ds_read_u16 v48, v0 offset:360
	;; [unrolled: 1-line block ×23, first 2 shown]
	s_and_saveexec_b32 s4, s0
	s_cbranch_execz .LBB0_19
; %bb.18:
	ds_read_u16 v37, v0 offset:1440
	ds_read_u16 v14, v0 offset:2940
	;; [unrolled: 1-line block ×3, first 2 shown]
.LBB0_19:
	s_or_b32 exec_lo, exec_lo, s4
	v_add_f16_e32 v96, v55, v56
	v_add_f16_e32 v97, v57, v12
	;; [unrolled: 1-line block ×3, first 2 shown]
	v_sub_f16_e32 v42, v44, v42
	v_sub_f16_e32 v43, v43, v45
	v_sub_f16_e32 v44, v57, v56
	v_fma_f16 v45, -0.5, v96, v12
	v_sub_f16_e32 v57, v56, v57
	v_add_f16_e32 v56, v56, v97
	v_fmac_f16_e32 v12, -0.5, v98
	v_sub_f16_e32 v96, v54, v55
	v_sub_f16_e32 v99, v55, v54
	v_add_f16_sdwa v6, v40, v6 dst_sel:DWORD dst_unused:UNUSED_PAD src0_sel:WORD_1 src1_sel:DWORD
	v_add_f16_e32 v55, v55, v56
	v_fmamk_f16 v40, v43, 0x3b9c, v12
	v_fmac_f16_e32 v12, 0xbb9c, v43
	v_fmamk_f16 v97, v42, 0xbb9c, v45
	v_add_f16_sdwa v6, v41, v6 dst_sel:DWORD dst_unused:UNUSED_PAD src0_sel:WORD_1 src1_sel:DWORD
	v_add_f16_e32 v54, v54, v55
	v_add_f16_e32 v55, v99, v57
	v_fmac_f16_e32 v40, 0xb8b4, v42
	v_fmac_f16_e32 v12, 0x38b4, v42
	v_add_f16_e32 v44, v96, v44
	v_fmac_f16_e32 v97, 0xb8b4, v43
	v_fmac_f16_e32 v45, 0x3b9c, v42
	v_mul_f16_e32 v41, 0x34f2, v55
	v_add_f16_sdwa v6, v39, v6 dst_sel:DWORD dst_unused:UNUSED_PAD src0_sel:WORD_1 src1_sel:DWORD
	v_mul_f16_e32 v39, 0xb8b4, v77
	v_pack_b32_f16 v12, v12, v40
	v_pk_mul_f16 v40, 0x34f23b9c, v78
	v_fmac_f16_e32 v97, 0x34f2, v44
	v_fmac_f16_e32 v45, 0x38b4, v43
	v_add_f16_sdwa v6, v38, v6 dst_sel:DWORD dst_unused:UNUSED_PAD src0_sel:WORD_1 src1_sel:DWORD
	v_fmac_f16_e32 v39, 0x3a79, v75
	v_pk_add_f16 v12, v41, v12 op_sel_hi:[0,1]
	v_pk_fma_f16 v38, 0x34f2bb9c, v76, v40 op_sel:[0,0,1] op_sel_hi:[1,1,0] neg_lo:[0,0,1] neg_hi:[0,0,1]
	v_mul_f16_e32 v5, 0x3a79, v5
	v_add_f16_e32 v55, v11, v7
	v_fmac_f16_e32 v45, 0x34f2, v44
	v_add_f16_e32 v40, v6, v54
	v_add_f16_e32 v41, v97, v39
	v_pk_add_f16 v42, v12, v38
	v_add_f16_e32 v43, v9, v10
	v_fma_f16 v5, v74, 0xb8b4, -v5
	v_bfi_b32 v44, 0xffff, v97, v12
	v_bfi_b32 v39, 0xffff, v39, v38
	v_sub_f16_e32 v54, v54, v6
	v_add_f16_e32 v6, v10, v55
	v_sub_f16_e32 v38, v12, v38
	v_add_f16_e32 v12, v8, v11
	v_fma_f16 v43, -0.5, v43, v7
	v_sub_f16_e32 v34, v34, v36
	v_add_f16_e32 v36, v45, v5
	v_sub_f16_e32 v33, v35, v33
	v_add_f16_e32 v6, v9, v6
	v_sub_f16_e32 v45, v45, v5
	v_add_f16_sdwa v5, v31, v87 dst_sel:DWORD dst_unused:UNUSED_PAD src0_sel:WORD_1 src1_sel:DWORD
	v_fmac_f16_e32 v7, -0.5, v12
	v_sub_f16_e32 v35, v11, v10
	v_sub_f16_e32 v55, v8, v9
	v_add_f16_e32 v12, v8, v6
	v_add_f16_sdwa v5, v32, v5 dst_sel:DWORD dst_unused:UNUSED_PAD src0_sel:WORD_1 src1_sel:DWORD
	v_fmamk_f16 v6, v33, 0x3b9c, v7
	v_sub_f16_e32 v10, v10, v11
	v_sub_f16_e32 v8, v9, v8
	v_fmac_f16_e32 v7, 0xbb9c, v33
	v_pk_add_f16 v39, v44, v39 neg_lo:[0,1] neg_hi:[0,1]
	v_fmamk_f16 v44, v34, 0xbb9c, v43
	v_fmac_f16_e32 v43, 0x3b9c, v34
	v_add_f16_sdwa v5, v29, v5 dst_sel:DWORD dst_unused:UNUSED_PAD src0_sel:WORD_1 src1_sel:DWORD
	v_fmac_f16_e32 v6, 0xb8b4, v34
	v_add_f16_e32 v8, v8, v10
	v_fmac_f16_e32 v7, 0x38b4, v34
	v_fmac_f16_e32 v44, 0xb8b4, v33
	v_add_f16_e32 v35, v55, v35
	v_fmac_f16_e32 v43, 0x38b4, v33
	v_mul_f16_e32 v9, 0xb8b4, v89
	v_add_f16_sdwa v10, v30, v5 dst_sel:DWORD dst_unused:UNUSED_PAD src0_sel:WORD_1 src1_sel:DWORD
	v_mul_f16_e32 v5, 0x34f2, v8
	v_pack_b32_f16 v6, v7, v6
	v_pk_mul_f16 v7, 0x34f23b9c, v83
	v_fmac_f16_e32 v44, 0x34f2, v35
	v_fmac_f16_e32 v43, 0x34f2, v35
	v_fmac_f16_e32 v9, 0x3a79, v85
	v_mul_f16_e32 v8, 0x3a79, v84
	v_add_f16_e32 v11, v20, v21
	v_pk_add_f16 v31, v5, v6 op_sel_hi:[0,1]
	v_pk_fma_f16 v7, 0x34f2bb9c, v80, v7 op_sel:[0,0,1] op_sel_hi:[1,1,0] neg_lo:[0,0,1] neg_hi:[0,0,1]
	v_add_f16_e32 v35, v23, v19
	v_add_f16_e32 v30, v44, v9
	v_fma_f16 v32, v86, 0xb8b4, -v8
	v_add_f16_e32 v6, v19, v16
	v_fma_f16 v5, -0.5, v11, v16
	v_bfi_b32 v8, 0xffff, v44, v31
	v_sub_f16_e32 v24, v24, v27
	v_sub_f16_e32 v27, v19, v21
	;; [unrolled: 1-line block ×3, first 2 shown]
	v_bfi_b32 v9, 0xffff, v9, v7
	v_fmac_f16_e32 v16, -0.5, v35
	v_add_f16_e32 v29, v10, v12
	v_sub_f16_e32 v11, v26, v28
	v_add_f16_e32 v27, v34, v27
	v_sub_f16_e32 v34, v12, v10
	v_pk_add_f16 v35, v8, v9 neg_lo:[0,1] neg_hi:[0,1]
	v_fmamk_f16 v10, v24, 0x3b9c, v16
	v_sub_f16_e32 v9, v21, v19
	v_sub_f16_e32 v12, v20, v23
	v_fmac_f16_e32 v16, 0xbb9c, v24
	v_add_f16_e32 v33, v21, v6
	v_fmamk_f16 v6, v11, 0xbb9c, v5
	v_add_f16_sdwa v19, v25, v93 dst_sel:DWORD dst_unused:UNUSED_PAD src0_sel:WORD_1 src1_sel:DWORD
	v_fmac_f16_e32 v10, 0xb8b4, v11
	v_add_f16_e32 v12, v12, v9
	v_fmac_f16_e32 v16, 0x38b4, v11
	v_fmac_f16_e32 v6, 0xb8b4, v24
	;; [unrolled: 1-line block ×3, first 2 shown]
	v_add_f16_sdwa v11, v22, v19 dst_sel:DWORD dst_unused:UNUSED_PAD src0_sel:WORD_1 src1_sel:DWORD
	v_mul_f16_e32 v9, 0xb8b4, v90
	v_mul_f16_e32 v12, 0x34f2, v12
	v_pack_b32_f16 v10, v16, v10
	v_pk_mul_f16 v16, 0x34f23b9c, v95
	v_add_f16_e32 v33, v20, v33
	v_fmac_f16_e32 v6, 0x34f2, v27
	v_add_f16_sdwa v18, v18, v11 dst_sel:DWORD dst_unused:UNUSED_PAD src0_sel:WORD_1 src1_sel:DWORD
	v_fmac_f16_e32 v9, 0x3a79, v92
	v_mul_f16_e32 v20, 0x3a79, v91
	v_pk_add_f16 v10, v12, v10 op_sel_hi:[0,1]
	v_pk_fma_f16 v11, 0x34f2bb9c, v94, v16 op_sel:[0,0,1] op_sel_hi:[1,1,0] neg_lo:[0,0,1] neg_hi:[0,0,1]
	v_fmac_f16_e32 v5, 0x38b4, v24
	v_add_f16_e32 v8, v23, v33
	v_fma_f16 v12, v88, 0xb8b4, -v20
	v_bfi_b32 v16, 0xffff, v6, v10
	v_bfi_b32 v20, 0xffff, v9, v11
	v_fmac_f16_e32 v5, 0x34f2, v27
	v_add_f16_sdwa v19, v17, v18 dst_sel:DWORD dst_unused:UNUSED_PAD src0_sel:WORD_1 src1_sel:DWORD
	v_pack_b32_f16 v23, v40, v41
	v_pk_add_f16 v26, v31, v7
	v_pk_add_f16 v16, v16, v20 neg_lo:[0,1] neg_hi:[0,1]
	v_alignbit_b32 v20, v42, v42, 16
	v_add_f16_e32 v28, v43, v32
	v_sub_f16_e32 v21, v31, v7
	v_sub_f16_e32 v22, v43, v32
	v_add_f16_e32 v18, v5, v12
	v_sub_f16_e32 v17, v8, v19
	v_add_nc_u32_e32 v7, 0xb4, v15
	s_waitcnt lgkmcnt(0)
	s_barrier
	buffer_gl0_inv
	ds_write2_b32 v79, v23, v20 offset1:1
	v_pack_b32_f16 v20, v36, v54
	v_pack_b32_f16 v23, v38, v45
	v_alignbit_b32 v24, v26, v26, 16
	v_pack_b32_f16 v25, v29, v30
	v_pack_b32_f16 v26, v28, v34
	;; [unrolled: 1-line block ×3, first 2 shown]
	ds_write2_b32 v79, v20, v39 offset0:2 offset1:3
	ds_write_b32 v79, v23 offset:16
	ds_write2_b32 v81, v25, v24 offset1:1
	ds_write2_b32 v82, v26, v35 offset1:1
	ds_write_b32 v79, v21 offset:1816
	s_and_saveexec_b32 s4, s1
	s_cbranch_execz .LBB0_21
; %bb.20:
	v_add_f16_e32 v8, v19, v8
	v_mul_u32_u24_e32 v19, 10, v7
	v_add_f16_e32 v6, v6, v9
	v_pk_add_f16 v9, v10, v11
	v_sub_f16_e32 v10, v10, v11
	v_sub_f16_e32 v5, v5, v12
	v_lshl_add_u32 v11, v19, 1, 0
	v_pack_b32_f16 v6, v8, v6
	v_alignbit_b32 v8, v9, v9, 16
	v_perm_b32 v9, v17, v18, 0x5040100
	v_pack_b32_f16 v5, v10, v5
	ds_write2_b32 v11, v6, v8 offset1:1
	ds_write2_b32 v11, v9, v16 offset0:2 offset1:3
	ds_write_b32 v11, v5 offset:16
.LBB0_21:
	s_or_b32 exec_lo, exec_lo, s4
	s_waitcnt lgkmcnt(0)
	s_barrier
	buffer_gl0_inv
	ds_read_u16 v20, v0
	ds_read_u16 v21, v0 offset:180
	ds_read_u16 v22, v0 offset:360
	;; [unrolled: 1-line block ×23, first 2 shown]
	s_and_saveexec_b32 s1, s0
	s_cbranch_execz .LBB0_23
; %bb.22:
	ds_read_u16 v18, v0 offset:1440
	ds_read_u16 v17, v0 offset:2940
	;; [unrolled: 1-line block ×3, first 2 shown]
.LBB0_23:
	s_or_b32 exec_lo, exec_lo, s1
	v_and_b32_e32 v19, 0xff, v15
	v_add_nc_u32_e32 v5, 0x168, v15
	v_add_nc_u32_e32 v10, 0x1c2, v15
	;; [unrolled: 1-line block ×3, first 2 shown]
	v_mov_b32_e32 v29, 0xcccd
	v_mul_lo_u16 v28, 0xcd, v19
	v_add_nc_u32_e32 v12, 0x276, v15
	v_add_nc_u32_e32 v11, 0x2d0, v15
	v_mov_b32_e32 v56, 3
	v_mul_u32_u24_sdwa v74, v10, v29 dst_sel:DWORD dst_unused:UNUSED_PAD src0_sel:WORD_0 src1_sel:DWORD
	v_lshrrev_b16 v55, 11, v28
	v_mul_u32_u24_sdwa v28, v5, v29 dst_sel:DWORD dst_unused:UNUSED_PAD src0_sel:WORD_0 src1_sel:DWORD
	v_mul_u32_u24_sdwa v76, v6, v29 dst_sel:DWORD dst_unused:UNUSED_PAD src0_sel:WORD_0 src1_sel:DWORD
	;; [unrolled: 1-line block ×3, first 2 shown]
	v_lshrrev_b32_e32 v74, 19, v74
	v_mul_lo_u16 v75, v55, 10
	v_lshrrev_b32_e32 v78, 19, v28
	v_lshrrev_b32_e32 v76, 19, v76
	v_mul_u32_u24_sdwa v28, v11, v29 dst_sel:DWORD dst_unused:UNUSED_PAD src0_sel:WORD_0 src1_sel:DWORD
	v_mul_lo_u16 v80, v74, 10
	v_sub_nc_u16 v75, v15, v75
	v_mul_lo_u16 v79, v78, 10
	v_mul_lo_u16 v82, v76, 10
	v_add_nc_u32_e32 v9, 0x10e, v15
	v_sub_nc_u16 v80, v10, v80
	v_mul_u32_u24_sdwa v57, v7, v29 dst_sel:DWORD dst_unused:UNUSED_PAD src0_sel:WORD_0 src1_sel:DWORD
	v_sub_nc_u16 v79, v5, v79
	v_sub_nc_u16 v82, v6, v82
	v_lshlrev_b32_sdwa v81, v56, v75 dst_sel:DWORD dst_unused:UNUSED_PAD src0_sel:DWORD src1_sel:BYTE_0
	v_lshrrev_b32_e32 v77, 19, v77
	v_lshrrev_b32_e32 v84, 19, v28
	v_lshlrev_b32_sdwa v83, v56, v79 dst_sel:DWORD dst_unused:UNUSED_PAD src0_sel:DWORD src1_sel:WORD_0
	v_lshlrev_b32_sdwa v28, v56, v80 dst_sel:DWORD dst_unused:UNUSED_PAD src0_sel:DWORD src1_sel:WORD_0
	;; [unrolled: 1-line block ×3, first 2 shown]
	global_load_dwordx2 v[98:99], v81, s[12:13]
	v_mul_u32_u24_sdwa v29, v9, v29 dst_sel:DWORD dst_unused:UNUSED_PAD src0_sel:WORD_0 src1_sel:DWORD
	global_load_dwordx2 v[100:101], v83, s[12:13]
	v_lshrrev_b32_e32 v57, 19, v57
	global_load_dwordx2 v[104:105], v85, s[12:13]
	v_mul_lo_u16 v83, v84, 10
	global_load_dwordx2 v[102:103], v28, s[12:13]
	v_mul_lo_u16 v81, v77, 10
	v_add_nc_u32_e32 v8, 0x5a, v15
	v_lshrrev_b32_e32 v87, 19, v29
	v_mul_lo_u16 v88, v57, 10
	v_sub_nc_u16 v29, v11, v83
	v_sub_nc_u16 v81, v12, v81
	v_and_b32_e32 v28, 0xff, v8
	v_mul_lo_u16 v83, v87, 10
	v_sub_nc_u16 v85, v7, v88
	v_lshlrev_b32_sdwa v88, v56, v29 dst_sel:DWORD dst_unused:UNUSED_PAD src0_sel:DWORD src1_sel:WORD_0
	v_lshlrev_b32_sdwa v86, v56, v81 dst_sel:DWORD dst_unused:UNUSED_PAD src0_sel:DWORD src1_sel:WORD_0
	v_mul_u32_u24_e32 v57, 60, v57
	v_sub_nc_u16 v83, v9, v83
	v_lshlrev_b32_sdwa v89, v56, v85 dst_sel:DWORD dst_unused:UNUSED_PAD src0_sel:DWORD src1_sel:WORD_0
	s_clause 0x1
	global_load_dwordx2 v[108:109], v88, s[12:13]
	global_load_dwordx2 v[106:107], v86, s[12:13]
	v_mul_lo_u16 v86, 0xcd, v28
	v_lshlrev_b32_sdwa v88, v56, v83 dst_sel:DWORD dst_unused:UNUSED_PAD src0_sel:DWORD src1_sel:WORD_0
	s_clause 0x1
	global_load_dwordx2 v[110:111], v89, s[12:13]
	global_load_dwordx2 v[112:113], v88, s[12:13]
	v_lshrrev_b16 v86, 11, v86
	v_mov_b32_e32 v89, 1
	v_mul_u32_u24_e32 v90, 60, v74
	v_mul_u32_u24_e32 v76, 60, v76
	;; [unrolled: 1-line block ×3, first 2 shown]
	v_mul_lo_u16 v88, v86, 10
	v_lshlrev_b32_sdwa v75, v89, v75 dst_sel:DWORD dst_unused:UNUSED_PAD src0_sel:DWORD src1_sel:BYTE_0
	v_lshlrev_b32_sdwa v77, v89, v85 dst_sel:DWORD dst_unused:UNUSED_PAD src0_sel:DWORD src1_sel:WORD_0
	v_lshlrev_b32_sdwa v85, v89, v80 dst_sel:DWORD dst_unused:UNUSED_PAD src0_sel:DWORD src1_sel:WORD_0
	;; [unrolled: 1-line block ×3, first 2 shown]
	v_sub_nc_u16 v88, v8, v88
	v_mul_u32_u24_e32 v87, 60, v87
	v_lshlrev_b32_sdwa v83, v89, v83 dst_sel:DWORD dst_unused:UNUSED_PAD src0_sel:DWORD src1_sel:WORD_0
	v_add3_u32 v80, 0, v57, v77
	v_add3_u32 v77, 0, v90, v85
	v_lshlrev_b32_sdwa v56, v56, v88 dst_sel:DWORD dst_unused:UNUSED_PAD src0_sel:DWORD src1_sel:BYTE_0
	v_lshlrev_b32_sdwa v88, v89, v88 dst_sel:DWORD dst_unused:UNUSED_PAD src0_sel:DWORD src1_sel:BYTE_0
	v_add3_u32 v76, 0, v76, v82
	v_mul_u32_u24_e32 v78, 60, v78
	v_mul_lo_u16 v74, v84, 30
	global_load_dwordx2 v[114:115], v56, s[12:13]
	v_mov_b32_e32 v56, 60
	v_lshlrev_b32_sdwa v84, v89, v79 dst_sel:DWORD dst_unused:UNUSED_PAD src0_sel:DWORD src1_sel:WORD_0
	v_add3_u32 v79, 0, v87, v83
	s_waitcnt vmcnt(0) lgkmcnt(0)
	s_barrier
	v_mul_u32_u24_sdwa v55, v55, v56 dst_sel:DWORD dst_unused:UNUSED_PAD src0_sel:WORD_0 src1_sel:DWORD
	v_mul_u32_u24_sdwa v56, v86, v56 dst_sel:DWORD dst_unused:UNUSED_PAD src0_sel:WORD_0 src1_sel:DWORD
	v_lshlrev_b32_sdwa v86, v89, v81 dst_sel:DWORD dst_unused:UNUSED_PAD src0_sel:DWORD src1_sel:WORD_0
	v_add3_u32 v78, 0, v78, v84
	buffer_gl0_inv
	v_add3_u32 v81, 0, v55, v75
	v_add3_u32 v82, 0, v56, v88
	;; [unrolled: 1-line block ×3, first 2 shown]
	v_mul_f16_sdwa v91, v72, v99 dst_sel:DWORD dst_unused:UNUSED_PAD src0_sel:DWORD src1_sel:WORD_1
	v_mul_f16_sdwa v97, v42, v98 dst_sel:DWORD dst_unused:UNUSED_PAD src0_sel:DWORD src1_sel:WORD_1
	;; [unrolled: 1-line block ×10, first 2 shown]
	v_fmac_f16_e32 v91, v45, v99
	v_fma_f16 v45, v70, v100, -v117
	v_fmac_f16_e32 v90, v43, v100
	v_fma_f16 v43, v68, v102, -v119
	;; [unrolled: 2-line block ×3, first 2 shown]
	v_mul_f16_sdwa v92, v69, v98 dst_sel:DWORD dst_unused:UNUSED_PAD src0_sel:DWORD src1_sel:WORD_1
	v_mul_f16_sdwa v118, v54, v101 dst_sel:DWORD dst_unused:UNUSED_PAD src0_sel:DWORD src1_sel:WORD_1
	;; [unrolled: 1-line block ×21, first 2 shown]
	v_fma_f16 v97, v69, v98, -v97
	v_fma_f16 v72, v72, v99, -v116
	v_fmac_f16_e32 v56, v39, v107
	v_fma_f16 v39, v14, v108, -v125
	v_fmac_f16_e32 v83, v17, v108
	;; [unrolled: 2-line block ×3, first 2 shown]
	v_fmac_f16_e32 v94, v34, v113
	v_mul_f16_sdwa v93, v63, v111 dst_sel:DWORD dst_unused:UNUSED_PAD src0_sel:DWORD src1_sel:WORD_1
	v_fmac_f16_e32 v92, v42, v98
	v_fma_f16 v69, v73, v101, -v118
	v_fmac_f16_e32 v87, v54, v101
	v_mul_f16_sdwa v70, v30, v114 dst_sel:DWORD dst_unused:UNUSED_PAD src0_sel:DWORD src1_sel:WORD_1
	v_mul_f16_sdwa v68, v58, v114 dst_sel:DWORD dst_unused:UNUSED_PAD src0_sel:DWORD src1_sel:WORD_1
	;; [unrolled: 1-line block ×4, first 2 shown]
	v_fma_f16 v54, v71, v103, -v120
	v_fma_f16 v34, v58, v114, -v70
	v_fmac_f16_e32 v68, v30, v114
	v_fma_f16 v30, v59, v115, -v65
	v_fmac_f16_e32 v86, v38, v104
	;; [unrolled: 2-line block ×6, first 2 shown]
	v_fma_f16 v33, v63, v111, -v128
	v_fma_f16 v16, v60, v112, -v129
	v_fmac_f16_e32 v95, v32, v112
	v_fma_f16 v32, v62, v113, -v130
	v_add_f16_e32 v13, v46, v97
	v_add_f16_e32 v14, v97, v72
	;; [unrolled: 1-line block ×3, first 2 shown]
	v_fmac_f16_e32 v44, v31, v115
	v_add_f16_e32 v105, v34, v30
	v_fmac_f16_e32 v93, v35, v111
	v_sub_f16_e32 v31, v92, v91
	v_add_f16_e32 v58, v45, v69
	v_add_f16_e32 v61, v43, v54
	v_add_f16_e32 v64, v41, v42
	v_add_f16_e32 v66, v53, v38
	v_add_f16_e32 v67, v38, v36
	v_sub_f16_e32 v73, v83, v84
	v_add_f16_e32 v99, v40, v33
	v_add_f16_e32 v102, v16, v32
	;; [unrolled: 1-line block ×3, first 2 shown]
	v_fmac_f16_e32 v46, -0.5, v14
	v_add_f16_e32 v14, v47, v34
	v_fma_f16 v13, -0.5, v71, v37
	v_sub_f16_e32 v106, v68, v44
	v_fmac_f16_e32 v47, -0.5, v105
	v_add_f16_e32 v35, v50, v45
	v_sub_f16_e32 v59, v90, v87
	v_add_f16_e32 v60, v51, v43
	v_sub_f16_e32 v62, v88, v85
	v_add_f16_e32 v63, v52, v41
	v_sub_f16_e32 v65, v86, v55
	v_sub_f16_e32 v70, v57, v56
	v_add_f16_e32 v98, v48, v40
	v_sub_f16_e32 v100, v96, v93
	v_add_f16_e32 v101, v49, v16
	v_sub_f16_e32 v103, v95, v94
	v_fmac_f16_e32 v50, -0.5, v58
	v_fmac_f16_e32 v51, -0.5, v61
	;; [unrolled: 1-line block ×3, first 2 shown]
	v_add_f16_e32 v61, v66, v36
	v_fmac_f16_e32 v53, -0.5, v67
	v_fmac_f16_e32 v48, -0.5, v99
	;; [unrolled: 1-line block ×3, first 2 shown]
	v_fmamk_f16 v66, v31, 0x3aee, v46
	v_fmac_f16_e32 v46, 0xbaee, v31
	v_add_f16_e32 v31, v14, v30
	v_fmamk_f16 v14, v73, 0x3aee, v13
	v_fmac_f16_e32 v13, 0xbaee, v73
	v_fmamk_f16 v73, v106, 0x3aee, v47
	v_fmac_f16_e32 v47, 0xbaee, v106
	v_add_f16_e32 v35, v35, v69
	v_add_f16_e32 v58, v60, v54
	;; [unrolled: 1-line block ×5, first 2 shown]
	v_fmamk_f16 v67, v59, 0x3aee, v50
	v_fmac_f16_e32 v50, 0xbaee, v59
	v_fmamk_f16 v59, v62, 0x3aee, v51
	v_fmac_f16_e32 v51, 0xbaee, v62
	;; [unrolled: 2-line block ×4, first 2 shown]
	ds_write_b16 v81, v104
	v_fmamk_f16 v70, v100, 0x3aee, v48
	v_fmac_f16_e32 v48, 0xbaee, v100
	v_fmamk_f16 v71, v103, 0x3aee, v49
	v_fmac_f16_e32 v49, 0xbaee, v103
	ds_write_b16 v81, v66 offset:20
	ds_write_b16 v81, v46 offset:40
	ds_write_b16 v82, v31
	ds_write_b16 v82, v73 offset:20
	ds_write_b16 v82, v47 offset:40
	ds_write_b16 v80, v63
	;; [unrolled: 3-line block ×7, first 2 shown]
	ds_write_b16 v75, v65 offset:20
	ds_write_b16 v75, v53 offset:40
	s_and_saveexec_b32 s1, s0
	s_cbranch_execz .LBB0_25
; %bb.24:
	v_add_f16_e32 v31, v37, v39
	v_lshlrev_b32_sdwa v35, v89, v29 dst_sel:DWORD dst_unused:UNUSED_PAD src0_sel:DWORD src1_sel:WORD_0
	v_lshlrev_b32_sdwa v37, v89, v74 dst_sel:DWORD dst_unused:UNUSED_PAD src0_sel:DWORD src1_sel:WORD_0
	v_add_f16_e32 v31, v31, v17
	v_add3_u32 v35, 0, v35, v37
	ds_write_b16 v35, v31
	ds_write_b16 v35, v14 offset:20
	ds_write_b16 v35, v13 offset:40
.LBB0_25:
	s_or_b32 exec_lo, exec_lo, s1
	v_add_f16_e32 v31, v92, v91
	v_add_f16_e32 v35, v20, v92
	;; [unrolled: 1-line block ×3, first 2 shown]
	v_sub_f16_e32 v30, v34, v30
	v_add_f16_e32 v34, v22, v96
	v_fmac_f16_e32 v20, -0.5, v31
	v_add_f16_e32 v31, v21, v68
	v_fmac_f16_e32 v21, -0.5, v46
	v_sub_f16_e32 v16, v16, v32
	v_add_f16_e32 v32, v24, v90
	v_sub_f16_e32 v37, v97, v72
	v_add_f16_e32 v51, v31, v44
	v_add_f16_e32 v31, v96, v93
	v_fmamk_f16 v52, v30, 0xbaee, v21
	v_fmac_f16_e32 v21, 0x3aee, v30
	v_add_f16_e32 v30, v95, v94
	v_add_f16_e32 v63, v32, v87
	v_fmac_f16_e32 v22, -0.5, v31
	v_sub_f16_e32 v31, v40, v33
	v_add_f16_e32 v33, v23, v95
	v_fmac_f16_e32 v23, -0.5, v30
	v_add_f16_e32 v32, v25, v88
	v_add_f16_e32 v53, v34, v93
	v_fmamk_f16 v30, v31, 0xbaee, v22
	v_fmac_f16_e32 v22, 0x3aee, v31
	v_add_f16_e32 v31, v90, v87
	v_fmamk_f16 v62, v16, 0xbaee, v23
	v_fmac_f16_e32 v23, 0x3aee, v16
	v_add_f16_e32 v16, v88, v85
	v_add_f16_e32 v61, v33, v94
	v_fmac_f16_e32 v24, -0.5, v31
	v_sub_f16_e32 v31, v45, v69
	v_add_f16_e32 v33, v86, v55
	v_fmac_f16_e32 v25, -0.5, v16
	v_sub_f16_e32 v16, v43, v54
	v_add_f16_e32 v65, v32, v85
	v_fmamk_f16 v64, v31, 0xbaee, v24
	v_fmac_f16_e32 v24, 0x3aee, v31
	v_add_f16_e32 v31, v26, v86
	v_fmamk_f16 v66, v16, 0xbaee, v25
	v_fmac_f16_e32 v25, 0x3aee, v16
	v_add_f16_e32 v16, v57, v56
	v_fmac_f16_e32 v26, -0.5, v33
	v_add_f16_e32 v67, v31, v55
	v_add_f16_e32 v31, v83, v84
	v_sub_f16_e32 v32, v41, v42
	v_add_f16_e32 v33, v27, v57
	v_fmac_f16_e32 v27, -0.5, v16
	v_sub_f16_e32 v34, v38, v36
	v_fma_f16 v16, -0.5, v31, v18
	v_sub_f16_e32 v31, v39, v17
	v_add_f16_e32 v49, v35, v91
	v_fmamk_f16 v50, v37, 0xbaee, v20
	v_fmac_f16_e32 v20, 0x3aee, v37
	v_fmamk_f16 v68, v32, 0xbaee, v26
	v_fmac_f16_e32 v26, 0x3aee, v32
	v_add_f16_e32 v69, v33, v56
	v_fmamk_f16 v70, v34, 0xbaee, v27
	v_fmac_f16_e32 v27, 0x3aee, v34
	v_fmamk_f16 v17, v31, 0xbaee, v16
	v_fmac_f16_e32 v16, 0x3aee, v31
	s_waitcnt lgkmcnt(0)
	s_barrier
	buffer_gl0_inv
	ds_read_u16 v48, v0 offset:1080
	ds_read_u16 v36, v0 offset:1260
	ds_read_u16 v35, v0
	ds_read_u16 v33, v0 offset:180
	ds_read_u16 v32, v0 offset:360
	;; [unrolled: 1-line block ×22, first 2 shown]
	s_waitcnt lgkmcnt(0)
	s_barrier
	buffer_gl0_inv
	ds_write_b16 v81, v49
	ds_write_b16 v81, v50 offset:20
	ds_write_b16 v81, v20 offset:40
	ds_write_b16 v82, v51
	ds_write_b16 v82, v52 offset:20
	ds_write_b16 v82, v21 offset:40
	;; [unrolled: 3-line block ×8, first 2 shown]
	s_and_saveexec_b32 s1, s0
	s_cbranch_execz .LBB0_27
; %bb.26:
	v_mov_b32_e32 v20, 1
	v_add_f16_e32 v18, v18, v83
	v_lshlrev_b32_sdwa v21, v20, v29 dst_sel:DWORD dst_unused:UNUSED_PAD src0_sel:DWORD src1_sel:WORD_0
	v_lshlrev_b32_sdwa v20, v20, v74 dst_sel:DWORD dst_unused:UNUSED_PAD src0_sel:DWORD src1_sel:WORD_0
	v_add_f16_e32 v18, v18, v84
	v_add3_u32 v20, 0, v21, v20
	ds_write_b16 v20, v18
	ds_write_b16 v20, v17 offset:20
	ds_write_b16 v20, v16 offset:40
.LBB0_27:
	s_or_b32 exec_lo, exec_lo, s1
	v_mul_lo_u16 v18, 0x89, v19
	v_mov_b32_e32 v27, 0x8889
	v_mov_b32_e32 v24, 4
	s_waitcnt lgkmcnt(0)
	s_barrier
	v_lshrrev_b16 v22, 12, v18
	v_mul_lo_u16 v18, 0x89, v28
	v_mul_u32_u24_sdwa v29, v7, v27 dst_sel:DWORD dst_unused:UNUSED_PAD src0_sel:WORD_0 src1_sel:DWORD
	buffer_gl0_inv
	v_mov_b32_e32 v53, 0x12c
	v_mul_lo_u16 v19, v22, 30
	v_lshrrev_b16 v23, 12, v18
	v_lshrrev_b32_e32 v49, 20, v29
	v_mov_b32_e32 v74, 1
	v_mul_u32_u24_sdwa v22, v22, v53 dst_sel:DWORD dst_unused:UNUSED_PAD src0_sel:WORD_0 src1_sel:DWORD
	v_sub_nc_u16 v25, v15, v19
	v_mul_lo_u16 v18, v23, 30
	v_mul_lo_u16 v29, v49, 30
	v_mul_u32_u24_sdwa v23, v23, v53 dst_sel:DWORD dst_unused:UNUSED_PAD src0_sel:WORD_0 src1_sel:DWORD
	v_mul_u32_u24_e32 v49, 0x12c, v49
	v_lshlrev_b32_sdwa v19, v24, v25 dst_sel:DWORD dst_unused:UNUSED_PAD src0_sel:DWORD src1_sel:BYTE_0
	v_sub_nc_u16 v26, v8, v18
	v_sub_nc_u16 v52, v7, v29
	v_lshlrev_b32_sdwa v25, v74, v25 dst_sel:DWORD dst_unused:UNUSED_PAD src0_sel:DWORD src1_sel:BYTE_0
	global_load_dwordx4 v[18:21], v19, s[12:13] offset:80
	v_lshlrev_b32_sdwa v28, v24, v26 dst_sel:DWORD dst_unused:UNUSED_PAD src0_sel:DWORD src1_sel:BYTE_0
	v_lshlrev_b32_sdwa v29, v24, v52 dst_sel:DWORD dst_unused:UNUSED_PAD src0_sel:DWORD src1_sel:WORD_0
	v_lshlrev_b32_sdwa v26, v74, v26 dst_sel:DWORD dst_unused:UNUSED_PAD src0_sel:DWORD src1_sel:BYTE_0
	v_add3_u32 v53, 0, v22, v25
	v_lshlrev_b32_sdwa v22, v74, v52 dst_sel:DWORD dst_unused:UNUSED_PAD src0_sel:DWORD src1_sel:WORD_0
	s_clause 0x1
	global_load_dwordx4 v[61:64], v28, s[12:13] offset:80
	global_load_dwordx4 v[95:98], v29, s[12:13] offset:80
	v_mul_u32_u24_sdwa v28, v9, v27 dst_sel:DWORD dst_unused:UNUSED_PAD src0_sel:WORD_0 src1_sel:DWORD
	v_mul_u32_u24_sdwa v27, v5, v27 dst_sel:DWORD dst_unused:UNUSED_PAD src0_sel:WORD_0 src1_sel:DWORD
	v_add3_u32 v52, 0, v49, v22
	v_lshrrev_b32_e32 v50, 20, v28
	v_lshrrev_b32_e32 v51, 20, v27
	v_mul_lo_u16 v28, v50, 30
	v_mul_lo_u16 v27, v51, 30
	v_mul_u32_u24_e32 v50, 0x12c, v50
	v_mul_u32_u24_e32 v75, 0x12c, v51
	v_add3_u32 v51, 0, v23, v26
	v_sub_nc_u16 v65, v9, v28
	v_sub_nc_u16 v66, v5, v27
	v_lshlrev_b32_sdwa v28, v24, v65 dst_sel:DWORD dst_unused:UNUSED_PAD src0_sel:DWORD src1_sel:WORD_0
	v_lshlrev_b32_sdwa v24, v24, v66 dst_sel:DWORD dst_unused:UNUSED_PAD src0_sel:DWORD src1_sel:WORD_0
	;; [unrolled: 1-line block ×4, first 2 shown]
	s_clause 0x1
	global_load_dwordx4 v[99:102], v28, s[12:13] offset:80
	global_load_dwordx4 v[103:106], v24, s[12:13] offset:80
	ds_read_u16 v67, v0 offset:1080
	ds_read_u16 v69, v0 offset:1260
	ds_read_u16 v30, v0
	ds_read_u16 v29, v0 offset:180
	ds_read_u16 v27, v0 offset:360
	ds_read_u16 v24, v0 offset:540
	ds_read_u16 v71, v0 offset:1440
	ds_read_u16 v68, v0 offset:1980
	ds_read_u16 v72, v0 offset:2160
	ds_read_u16 v73, v0 offset:2340
	ds_read_u16 v70, v0 offset:2880
	ds_read_u16 v80, v0 offset:3060
	ds_read_u16 v107, v0 offset:3240
	ds_read_u16 v78, v0 offset:3780
	ds_read_u16 v108, v0 offset:3960
	ds_read_u16 v109, v0 offset:4140
	ds_read_u16 v79, v0 offset:900
	ds_read_u16 v28, v0 offset:720
	ds_read_u16 v81, v0 offset:2700
	ds_read_u16 v110, v0 offset:2520
	ds_read_u16 v82, v0 offset:1800
	ds_read_u16 v111, v0 offset:1620
	ds_read_u16 v84, v0 offset:3600
	ds_read_u16 v112, v0 offset:3420
	ds_read_u16 v113, v0 offset:4320
	v_add3_u32 v50, 0, v50, v23
	v_add3_u32 v49, 0, v75, v25
	s_waitcnt vmcnt(0) lgkmcnt(0)
	s_barrier
	buffer_gl0_inv
	v_mul_f16_sdwa v22, v79, v18 dst_sel:DWORD dst_unused:UNUSED_PAD src0_sel:DWORD src1_sel:WORD_1
	v_mul_f16_sdwa v89, v58, v18 dst_sel:DWORD dst_unused:UNUSED_PAD src0_sel:DWORD src1_sel:WORD_1
	;; [unrolled: 1-line block ×16, first 2 shown]
	v_fma_f16 v91, v58, v18, -v22
	v_fmac_f16_e32 v89, v79, v18
	v_fma_f16 v92, v60, v19, -v23
	v_fmac_f16_e32 v90, v82, v19
	;; [unrolled: 2-line block ×7, first 2 shown]
	v_fma_f16 v88, v56, v64, -v88
	v_mul_f16_sdwa v18, v69, v95 dst_sel:DWORD dst_unused:UNUSED_PAD src0_sel:DWORD src1_sel:WORD_1
	v_mul_f16_sdwa v66, v36, v95 dst_sel:DWORD dst_unused:UNUSED_PAD src0_sel:DWORD src1_sel:WORD_1
	;; [unrolled: 1-line block ×16, first 2 shown]
	v_fmac_f16_e32 v77, v78, v64
	v_mul_f16_sdwa v68, v46, v97 dst_sel:DWORD dst_unused:UNUSED_PAD src0_sel:DWORD src1_sel:WORD_1
	v_mul_f16_sdwa v70, v47, v98 dst_sel:DWORD dst_unused:UNUSED_PAD src0_sel:DWORD src1_sel:WORD_1
	;; [unrolled: 1-line block ×8, first 2 shown]
	v_fma_f16 v81, v36, v95, -v18
	v_fmac_f16_e32 v66, v69, v95
	v_fma_f16 v78, v44, v96, -v19
	v_fmac_f16_e32 v67, v72, v96
	v_fma_f16 v79, v46, v97, -v20
	v_fma_f16 v82, v47, v98, -v21
	;; [unrolled: 1-line block ×3, first 2 shown]
	v_fmac_f16_e32 v58, v71, v99
	v_fma_f16 v69, v38, v100, -v23
	v_fmac_f16_e32 v59, v73, v100
	v_fma_f16 v71, v39, v101, -v25
	v_fma_f16 v73, v40, v102, -v26
	;; [unrolled: 1-line block ×6, first 2 shown]
	v_add_f16_e32 v18, v35, v91
	v_add_f16_e32 v19, v92, v93
	v_sub_f16_e32 v22, v91, v92
	v_sub_f16_e32 v23, v94, v93
	v_add_f16_e32 v25, v91, v94
	v_sub_f16_e32 v26, v92, v91
	v_sub_f16_e32 v36, v93, v94
	v_add_f16_e32 v37, v33, v86
	v_add_f16_e32 v38, v84, v85
	v_sub_f16_e32 v41, v86, v84
	v_sub_f16_e32 v42, v88, v85
	v_add_f16_e32 v43, v86, v88
	v_sub_f16_e32 v44, v84, v86
	v_sub_f16_e32 v45, v85, v88
	v_fmac_f16_e32 v68, v80, v97
	v_fmac_f16_e32 v70, v108, v98
	;; [unrolled: 1-line block ×6, first 2 shown]
	v_sub_f16_e32 v20, v89, v83
	v_sub_f16_e32 v21, v90, v87
	;; [unrolled: 1-line block ×4, first 2 shown]
	v_add_f16_e32 v18, v18, v92
	v_fma_f16 v19, -0.5, v19, v35
	v_add_f16_e32 v22, v22, v23
	v_fmac_f16_e32 v35, -0.5, v25
	v_add_f16_e32 v23, v26, v36
	v_add_f16_e32 v25, v37, v84
	v_fma_f16 v26, -0.5, v38, v33
	v_add_f16_e32 v36, v41, v42
	v_fmac_f16_e32 v33, -0.5, v43
	v_add_f16_e32 v37, v44, v45
	v_add_f16_e32 v38, v32, v81
	;; [unrolled: 1-line block ×3, first 2 shown]
	v_sub_f16_e32 v44, v81, v78
	v_sub_f16_e32 v45, v82, v79
	v_add_f16_e32 v46, v81, v82
	v_sub_f16_e32 v47, v78, v81
	v_sub_f16_e32 v48, v79, v82
	v_add_f16_e32 v80, v31, v72
	v_add_f16_e32 v95, v69, v71
	v_add_f16_e32 v100, v72, v73
	v_add_f16_e32 v104, v62, v63
	v_add_f16_e32 v109, v64, v65
	v_fmac_f16_e32 v55, v111, v103
	v_fmac_f16_e32 v54, v113, v106
	v_sub_f16_e32 v42, v66, v70
	v_sub_f16_e32 v43, v67, v68
	;; [unrolled: 1-line block ×6, first 2 shown]
	v_add_f16_e32 v103, v34, v64
	v_sub_f16_e32 v106, v56, v57
	v_add_f16_e32 v112, v18, v93
	v_fmamk_f16 v113, v20, 0x3b9c, v19
	v_fmac_f16_e32 v19, 0xbb9c, v20
	v_fmamk_f16 v114, v21, 0xbb9c, v35
	v_fmac_f16_e32 v35, 0x3b9c, v21
	v_add_f16_e32 v25, v25, v85
	v_fmamk_f16 v115, v39, 0x3b9c, v26
	v_fmac_f16_e32 v26, 0xbb9c, v39
	v_fmamk_f16 v116, v40, 0xbb9c, v33
	v_fmac_f16_e32 v33, 0x3b9c, v40
	v_add_f16_e32 v38, v38, v78
	v_fma_f16 v41, -0.5, v41, v32
	v_add_f16_e32 v44, v44, v45
	v_fmac_f16_e32 v32, -0.5, v46
	v_add_f16_e32 v45, v47, v48
	v_add_f16_e32 v46, v80, v69
	v_fma_f16 v47, -0.5, v95, v31
	v_fmac_f16_e32 v31, -0.5, v100
	v_fma_f16 v18, -0.5, v104, v34
	v_fmac_f16_e32 v34, -0.5, v109
	v_sub_f16_e32 v105, v55, v54
	v_sub_f16_e32 v98, v72, v69
	;; [unrolled: 1-line block ×5, first 2 shown]
	v_add_f16_e32 v80, v101, v102
	v_add_f16_e32 v95, v103, v62
	v_fmac_f16_e32 v113, 0x38b4, v21
	v_fmac_f16_e32 v19, 0xb8b4, v21
	;; [unrolled: 1-line block ×4, first 2 shown]
	v_add_f16_e32 v20, v25, v88
	v_fmac_f16_e32 v115, 0x38b4, v40
	v_fmac_f16_e32 v26, 0xb8b4, v40
	;; [unrolled: 1-line block ×4, first 2 shown]
	v_add_f16_e32 v21, v38, v79
	v_fmamk_f16 v25, v42, 0x3b9c, v41
	v_fmac_f16_e32 v41, 0xbb9c, v42
	v_fmamk_f16 v38, v43, 0xbb9c, v32
	v_add_f16_e32 v39, v46, v71
	v_fmamk_f16 v40, v96, 0x3b9c, v47
	v_fmac_f16_e32 v47, 0xbb9c, v96
	v_fmamk_f16 v46, v97, 0xbb9c, v31
	v_fmac_f16_e32 v31, 0x3b9c, v97
	;; [unrolled: 2-line block ×3, first 2 shown]
	v_sub_f16_e32 v107, v64, v62
	v_sub_f16_e32 v108, v65, v63
	v_fmac_f16_e32 v32, 0x3b9c, v43
	v_fmamk_f16 v101, v105, 0x3b9c, v18
	v_fmac_f16_e32 v18, 0xbb9c, v105
	v_add_f16_e32 v48, v98, v99
	v_add_f16_e32 v99, v110, v111
	;; [unrolled: 1-line block ×3, first 2 shown]
	v_fmac_f16_e32 v25, 0x38b4, v43
	v_fmac_f16_e32 v41, 0xb8b4, v43
	v_fmac_f16_e32 v38, 0x38b4, v42
	v_fmac_f16_e32 v40, 0x38b4, v97
	v_fmac_f16_e32 v47, 0xb8b4, v97
	v_fmac_f16_e32 v46, 0x38b4, v96
	v_fmac_f16_e32 v31, 0xb8b4, v96
	v_fmac_f16_e32 v34, 0xb8b4, v105
	v_add_f16_e32 v98, v107, v108
	v_add_f16_e32 v100, v112, v94
	v_fmac_f16_e32 v113, 0x34f2, v22
	v_fmac_f16_e32 v32, 0xb8b4, v42
	;; [unrolled: 1-line block ×10, first 2 shown]
	v_add_f16_e32 v21, v21, v82
	v_add_f16_e32 v22, v39, v73
	;; [unrolled: 1-line block ×3, first 2 shown]
	v_fmac_f16_e32 v25, 0x34f2, v44
	v_fmac_f16_e32 v41, 0x34f2, v44
	;; [unrolled: 1-line block ×10, first 2 shown]
	ds_write_b16 v53, v100
	v_fmac_f16_e32 v32, 0x34f2, v45
	v_fmac_f16_e32 v101, 0x34f2, v98
	;; [unrolled: 1-line block ×4, first 2 shown]
	ds_write_b16 v53, v113 offset:60
	ds_write_b16 v53, v114 offset:120
	ds_write_b16 v53, v35 offset:180
	ds_write_b16 v53, v19 offset:240
	ds_write_b16 v51, v20
	ds_write_b16 v51, v115 offset:60
	ds_write_b16 v51, v116 offset:120
	ds_write_b16 v51, v33 offset:180
	ds_write_b16 v51, v26 offset:240
	ds_write_b16 v52, v21
	;; [unrolled: 5-line block ×4, first 2 shown]
	ds_write_b16 v49, v101 offset:60
	ds_write_b16 v49, v102 offset:120
	;; [unrolled: 1-line block ×4, first 2 shown]
	s_waitcnt lgkmcnt(0)
	s_barrier
	buffer_gl0_inv
	ds_read_u16 v31, v0
	ds_read_u16 v25, v0 offset:180
	ds_read_u16 v26, v0 offset:360
	;; [unrolled: 1-line block ×23, first 2 shown]
	v_lshl_add_u32 v80, v15, 1, 0
	s_and_saveexec_b32 s1, s0
	s_cbranch_execz .LBB0_29
; %bb.28:
	ds_read_u16 v14, v0 offset:2940
	ds_read_u16 v18, v80 offset:1440
	;; [unrolled: 1-line block ×3, first 2 shown]
.LBB0_29:
	s_or_b32 exec_lo, exec_lo, s1
	v_add_f16_e32 v32, v90, v87
	v_add_f16_e32 v95, v30, v89
	v_sub_f16_e32 v91, v91, v94
	v_sub_f16_e32 v92, v92, v93
	;; [unrolled: 1-line block ×3, first 2 shown]
	v_fma_f16 v94, -0.5, v32, v30
	v_add_f16_e32 v96, v89, v83
	v_sub_f16_e32 v89, v90, v89
	v_add_f16_e32 v90, v95, v90
	v_sub_f16_e32 v32, v83, v87
	v_fmamk_f16 v95, v91, 0xbb9c, v94
	v_sub_f16_e32 v97, v87, v83
	v_fmac_f16_e32 v94, 0x3b9c, v91
	v_add_f16_e32 v87, v90, v87
	v_fmac_f16_e32 v30, -0.5, v96
	v_add_f16_e32 v32, v93, v32
	v_fmac_f16_e32 v95, 0xb8b4, v92
	v_fmac_f16_e32 v94, 0x38b4, v92
	v_add_f16_e32 v83, v87, v83
	v_add_f16_e32 v87, v89, v97
	;; [unrolled: 1-line block ×3, first 2 shown]
	v_fmamk_f16 v90, v92, 0x3b9c, v30
	v_fmac_f16_e32 v95, 0x34f2, v32
	v_fmac_f16_e32 v94, 0x34f2, v32
	;; [unrolled: 1-line block ×3, first 2 shown]
	v_add_f16_e32 v32, v89, v75
	v_add_f16_e32 v93, v75, v76
	v_fmac_f16_e32 v90, 0xb8b4, v91
	v_add_f16_e32 v92, v74, v77
	v_fmac_f16_e32 v30, 0x38b4, v91
	v_add_f16_e32 v32, v32, v76
	v_fma_f16 v93, -0.5, v93, v29
	v_fmac_f16_e32 v90, 0x34f2, v87
	v_sub_f16_e32 v84, v84, v85
	v_sub_f16_e32 v85, v74, v75
	v_sub_f16_e32 v89, v77, v76
	v_fmac_f16_e32 v29, -0.5, v92
	v_fmac_f16_e32 v30, 0x34f2, v87
	v_add_f16_e32 v87, v32, v77
	v_sub_f16_e32 v32, v75, v74
	v_sub_f16_e32 v74, v76, v77
	v_add_f16_e32 v75, v27, v66
	v_add_f16_e32 v76, v67, v68
	v_sub_f16_e32 v86, v86, v88
	v_add_f16_e32 v85, v85, v89
	v_fmamk_f16 v89, v84, 0x3b9c, v29
	v_add_f16_e32 v32, v32, v74
	v_fmac_f16_e32 v29, 0xbb9c, v84
	v_add_f16_e32 v74, v75, v67
	v_fma_f16 v75, -0.5, v76, v27
	v_sub_f16_e32 v76, v81, v82
	v_fmac_f16_e32 v89, 0xb8b4, v86
	v_fmac_f16_e32 v29, 0x38b4, v86
	v_add_f16_e32 v74, v74, v68
	v_add_f16_e32 v81, v66, v70
	v_fmamk_f16 v77, v76, 0xbb9c, v75
	v_sub_f16_e32 v78, v78, v79
	v_sub_f16_e32 v79, v66, v67
	;; [unrolled: 1-line block ×3, first 2 shown]
	v_fmac_f16_e32 v75, 0x3b9c, v76
	v_sub_f16_e32 v66, v67, v66
	v_sub_f16_e32 v67, v68, v70
	v_add_f16_e32 v68, v59, v60
	v_fmac_f16_e32 v89, 0x34f2, v32
	v_fmac_f16_e32 v29, 0x34f2, v32
	v_fmac_f16_e32 v27, -0.5, v81
	v_add_f16_e32 v74, v74, v70
	v_fmac_f16_e32 v77, 0xb8b4, v78
	v_add_f16_e32 v32, v79, v82
	v_fmac_f16_e32 v75, 0x38b4, v78
	v_add_f16_e32 v66, v66, v67
	v_add_f16_e32 v67, v24, v58
	v_fma_f16 v68, -0.5, v68, v24
	v_sub_f16_e32 v70, v72, v73
	v_fmamk_f16 v79, v78, 0x3b9c, v27
	v_fmac_f16_e32 v77, 0x34f2, v32
	v_fmac_f16_e32 v27, 0xbb9c, v78
	;; [unrolled: 1-line block ×3, first 2 shown]
	v_add_f16_e32 v32, v67, v59
	v_fmamk_f16 v67, v70, 0xbb9c, v68
	v_sub_f16_e32 v69, v69, v71
	v_sub_f16_e32 v71, v58, v59
	;; [unrolled: 1-line block ×3, first 2 shown]
	v_fmac_f16_e32 v68, 0x3b9c, v70
	v_add_f16_e32 v73, v58, v61
	v_fmac_f16_e32 v79, 0xb8b4, v76
	v_fmac_f16_e32 v27, 0x38b4, v76
	v_add_f16_e32 v32, v32, v60
	v_fmac_f16_e32 v67, 0xb8b4, v69
	v_add_f16_e32 v71, v71, v72
	v_fmac_f16_e32 v68, 0x38b4, v69
	v_fmac_f16_e32 v24, -0.5, v73
	v_fmac_f16_e32 v79, 0x34f2, v66
	v_fmac_f16_e32 v27, 0x34f2, v66
	v_add_f16_e32 v66, v32, v61
	v_fmac_f16_e32 v67, 0x34f2, v71
	v_fmac_f16_e32 v68, 0x34f2, v71
	v_fmamk_f16 v71, v69, 0x3b9c, v24
	v_add_f16_e32 v32, v56, v57
	v_sub_f16_e32 v58, v59, v58
	v_sub_f16_e32 v59, v60, v61
	v_fmac_f16_e32 v24, 0xbb9c, v69
	v_add_f16_e32 v60, v28, v55
	v_sub_f16_e32 v61, v64, v65
	v_add_f16_e32 v64, v55, v54
	v_fma_f16 v32, -0.5, v32, v28
	v_fmac_f16_e32 v71, 0xb8b4, v70
	v_add_f16_e32 v58, v58, v59
	v_fmac_f16_e32 v24, 0x38b4, v70
	v_add_f16_e32 v59, v60, v56
	v_sub_f16_e32 v62, v62, v63
	v_fmac_f16_e32 v28, -0.5, v64
	v_fmamk_f16 v60, v61, 0xbb9c, v32
	v_fmac_f16_e32 v71, 0x34f2, v58
	v_fmac_f16_e32 v24, 0x34f2, v58
	v_add_f16_e32 v58, v59, v57
	v_sub_f16_e32 v59, v55, v56
	v_sub_f16_e32 v63, v54, v57
	v_fmamk_f16 v64, v62, 0x3b9c, v28
	v_sub_f16_e32 v55, v56, v55
	v_sub_f16_e32 v56, v57, v54
	v_fmac_f16_e32 v28, 0xbb9c, v62
	v_fmamk_f16 v88, v86, 0xbb9c, v93
	v_fmac_f16_e32 v93, 0x3b9c, v86
	v_fmac_f16_e32 v32, 0x3b9c, v61
	v_fmac_f16_e32 v60, 0xb8b4, v62
	v_add_f16_e32 v57, v59, v63
	v_fmac_f16_e32 v64, 0xb8b4, v61
	v_add_f16_e32 v55, v55, v56
	v_fmac_f16_e32 v28, 0x38b4, v61
	v_fmac_f16_e32 v88, 0xb8b4, v84
	;; [unrolled: 1-line block ×4, first 2 shown]
	v_add_f16_e32 v54, v58, v54
	v_fmac_f16_e32 v60, 0x34f2, v57
	v_fmac_f16_e32 v64, 0x34f2, v55
	;; [unrolled: 1-line block ×6, first 2 shown]
	s_waitcnt lgkmcnt(0)
	s_barrier
	buffer_gl0_inv
	ds_write_b16 v53, v83
	ds_write_b16 v53, v95 offset:60
	ds_write_b16 v53, v90 offset:120
	ds_write_b16 v53, v30 offset:180
	ds_write_b16 v53, v94 offset:240
	ds_write_b16 v51, v87
	ds_write_b16 v51, v88 offset:60
	ds_write_b16 v51, v89 offset:120
	ds_write_b16 v51, v29 offset:180
	ds_write_b16 v51, v93 offset:240
	;; [unrolled: 5-line block ×5, first 2 shown]
	s_waitcnt lgkmcnt(0)
	s_barrier
	buffer_gl0_inv
	ds_read_u16 v24, v0
	ds_read_u16 v27, v0 offset:180
	ds_read_u16 v28, v0 offset:360
	;; [unrolled: 1-line block ×23, first 2 shown]
	s_and_saveexec_b32 s1, s0
	s_cbranch_execz .LBB0_31
; %bb.30:
	ds_read_u16 v17, v0 offset:2940
	ds_read_u16 v32, v80 offset:1440
	;; [unrolled: 1-line block ×3, first 2 shown]
.LBB0_31:
	s_or_b32 exec_lo, exec_lo, s1
	v_subrev_nc_u32_e32 v70, 60, v15
	v_cmp_gt_u32_e64 s1, 60, v15
	v_lshlrev_b32_e32 v68, 1, v15
	v_mov_b32_e32 v69, 0
	v_lshrrev_b16 v72, 1, v9
	v_mov_b32_e32 v80, 0xda75
	v_cndmask_b32_e64 v74, v70, v8, s1
	v_lshlrev_b64 v[70:71], 2, v[68:69]
	v_mov_b32_e32 v73, v69
	v_mul_u32_u24_sdwa v76, v72, v80 dst_sel:DWORD dst_unused:UNUSED_PAD src0_sel:WORD_0 src1_sel:DWORD
	v_lshlrev_b32_e32 v72, 1, v74
	v_add_nc_u32_e32 v74, 60, v68
	v_mov_b32_e32 v75, v69
	v_add_co_u32 v70, s1, s12, v70
	v_lshrrev_b32_e32 v81, 22, v76
	v_lshlrev_b64 v[76:77], 2, v[72:73]
	v_add_co_ci_u32_e64 v71, s1, s13, v71, s1
	v_add_nc_u32_e32 v68, 0, v68
	global_load_dwordx2 v[78:79], v[70:71], off offset:560
	v_mul_lo_u16 v71, 0x96, v81
	v_add_co_u32 v73, s1, s12, v76
	v_lshrrev_b16 v76, 1, v5
	v_lshlrev_b64 v[69:70], 2, v[74:75]
	v_add_co_ci_u32_e64 v74, s1, s13, v77, s1
	v_sub_nc_u16 v71, v9, v71
	v_mov_b32_e32 v75, 3
	v_mul_u32_u24_sdwa v76, v76, v80 dst_sel:DWORD dst_unused:UNUSED_PAD src0_sel:WORD_0 src1_sel:DWORD
	v_add_co_u32 v69, s1, s12, v69
	v_add_co_ci_u32_e64 v70, s1, s13, v70, s1
	v_lshrrev_b16 v77, 1, v10
	v_lshlrev_b32_sdwa v82, v75, v71 dst_sel:DWORD dst_unused:UNUSED_PAD src0_sel:DWORD src1_sel:WORD_0
	global_load_dwordx2 v[84:85], v[73:74], off offset:560
	v_lshrrev_b32_e32 v73, 22, v76
	s_clause 0x1
	global_load_dwordx2 v[86:87], v[69:70], off offset:560
	global_load_dwordx2 v[88:89], v82, s[12:13] offset:560
	v_mul_u32_u24_sdwa v74, v77, v80 dst_sel:DWORD dst_unused:UNUSED_PAD src0_sel:WORD_0 src1_sel:DWORD
	v_lshrrev_b16 v69, 1, v12
	v_lshrrev_b16 v70, 1, v6
	v_mul_lo_u16 v73, 0x96, v73
	v_lshrrev_b16 v76, 1, v11
	v_lshrrev_b32_e32 v74, 22, v74
	v_mul_u32_u24_sdwa v69, v69, v80 dst_sel:DWORD dst_unused:UNUSED_PAD src0_sel:WORD_0 src1_sel:DWORD
	v_mul_u32_u24_sdwa v70, v70, v80 dst_sel:DWORD dst_unused:UNUSED_PAD src0_sel:WORD_0 src1_sel:DWORD
	v_sub_nc_u16 v73, v5, v73
	v_mul_u32_u24_sdwa v76, v76, v80 dst_sel:DWORD dst_unused:UNUSED_PAD src0_sel:WORD_0 src1_sel:DWORD
	v_mul_lo_u16 v74, 0x96, v74
	v_lshrrev_b32_e32 v69, 22, v69
	v_lshrrev_b32_e32 v70, 22, v70
	v_and_b32_e32 v77, 0xffff, v73
	v_lshrrev_b32_e32 v73, 22, v76
	v_sub_nc_u16 v10, v10, v74
	v_mul_lo_u16 v69, 0x96, v69
	v_mul_lo_u16 v74, 0x96, v70
	v_lshlrev_b32_e32 v76, 3, v77
	v_mul_lo_u16 v73, 0x96, v73
	v_and_b32_e32 v10, 0xffff, v10
	v_sub_nc_u16 v12, v12, v69
	v_sub_nc_u16 v6, v6, v74
	global_load_dwordx2 v[90:91], v76, s[12:13] offset:560
	v_sub_nc_u16 v11, v11, v73
	v_lshlrev_b32_e32 v69, 3, v10
	v_and_b32_e32 v12, 0xffff, v12
	v_lshlrev_b32_sdwa v73, v75, v6 dst_sel:DWORD dst_unused:UNUSED_PAD src0_sel:DWORD src1_sel:WORD_0
	v_cmp_lt_u32_e64 s1, 59, v15
	v_and_b32_e32 v11, 0xffff, v11
	global_load_dwordx2 v[92:93], v69, s[12:13] offset:560
	v_mul_u32_u24_e32 v75, 0x384, v81
	global_load_dwordx2 v[94:95], v73, s[12:13] offset:560
	v_lshlrev_b32_e32 v69, 3, v12
	v_lshlrev_b32_e32 v73, 3, v11
	s_clause 0x1
	global_load_dwordx2 v[96:97], v69, s[12:13] offset:560
	global_load_dwordx2 v[98:99], v73, s[12:13] offset:560
	v_mov_b32_e32 v69, 1
	v_cndmask_b32_e64 v73, 0, 0x384, s1
	v_mul_u32_u24_e32 v70, 0x384, v70
	s_waitcnt vmcnt(0) lgkmcnt(0)
	s_barrier
	v_lshlrev_b32_sdwa v71, v69, v71 dst_sel:DWORD dst_unused:UNUSED_PAD src0_sel:DWORD src1_sel:WORD_0
	v_lshlrev_b32_sdwa v6, v69, v6 dst_sel:DWORD dst_unused:UNUSED_PAD src0_sel:DWORD src1_sel:WORD_0
	v_add3_u32 v74, 0, v73, v72
	v_lshl_add_u32 v72, v77, 1, 0
	buffer_gl0_inv
	v_add3_u32 v73, 0, v75, v71
	v_lshl_add_u32 v71, v10, 1, 0
	v_add3_u32 v69, 0, v70, v6
	v_lshl_add_u32 v6, v11, 1, 0
	v_lshl_add_u32 v70, v12, 1, 0
	v_mul_f16_sdwa v10, v66, v78 dst_sel:DWORD dst_unused:UNUSED_PAD src0_sel:DWORD src1_sel:WORD_1
	v_mul_f16_sdwa v11, v67, v79 dst_sel:DWORD dst_unused:UNUSED_PAD src0_sel:DWORD src1_sel:WORD_1
	;; [unrolled: 1-line block ×4, first 2 shown]
	v_fma_f16 v81, v47, v78, -v10
	v_fma_f16 v82, v48, v79, -v11
	v_fmac_f16_e32 v80, v66, v78
	v_fmac_f16_e32 v77, v67, v79
	v_add_f16_e32 v48, v31, v81
	v_add_f16_e32 v100, v81, v82
	v_sub_f16_e32 v101, v80, v77
	v_fmac_f16_e32 v31, -0.5, v100
	v_mul_f16_sdwa v10, v63, v84 dst_sel:DWORD dst_unused:UNUSED_PAD src0_sel:DWORD src1_sel:WORD_1
	v_mul_f16_sdwa v79, v44, v84 dst_sel:DWORD dst_unused:UNUSED_PAD src0_sel:DWORD src1_sel:WORD_1
	;; [unrolled: 1-line block ×12, first 2 shown]
	v_fma_f16 v83, v44, v84, -v10
	v_fmac_f16_e32 v79, v63, v84
	v_fma_f16 v84, v46, v85, -v11
	v_fmac_f16_e32 v78, v65, v85
	v_fma_f16 v65, v45, v87, -v47
	v_fma_f16 v63, v42, v86, -v12
	v_fmac_f16_e32 v76, v61, v86
	v_fmac_f16_e32 v66, v64, v87
	v_add_f16_e32 v44, v48, v82
	v_fma_f16 v61, v41, v88, -v102
	v_fmac_f16_e32 v75, v60, v88
	v_fma_f16 v64, v43, v89, -v103
	v_fmac_f16_e32 v67, v62, v89
	v_fmamk_f16 v105, v101, 0x3aee, v31
	v_add_f16_e32 v106, v83, v84
	v_mul_f16_sdwa v45, v56, v90 dst_sel:DWORD dst_unused:UNUSED_PAD src0_sel:DWORD src1_sel:WORD_1
	v_mul_f16_sdwa v85, v59, v91 dst_sel:DWORD dst_unused:UNUSED_PAD src0_sel:DWORD src1_sel:WORD_1
	;; [unrolled: 1-line block ×4, first 2 shown]
	v_fmac_f16_e32 v31, 0xbaee, v101
	v_fma_f16 v62, v37, v90, -v45
	v_fma_f16 v40, v40, v91, -v85
	v_mul_f16_sdwa v86, v54, v92 dst_sel:DWORD dst_unused:UNUSED_PAD src0_sel:DWORD src1_sel:WORD_1
	v_mul_f16_sdwa v87, v58, v93 dst_sel:DWORD dst_unused:UNUSED_PAD src0_sel:DWORD src1_sel:WORD_1
	;; [unrolled: 1-line block ×16, first 2 shown]
	v_add_f16_e32 v101, v25, v83
	ds_write_b16 v0, v44
	v_fma_f16 v37, v35, v92, -v86
	v_fma_f16 v39, v39, v93, -v87
	;; [unrolled: 1-line block ×7, first 2 shown]
	v_add_f16_e32 v14, v61, v64
	v_add_f16_e32 v109, v63, v65
	v_sub_f16_e32 v107, v79, v78
	v_fmac_f16_e32 v60, v56, v90
	v_fmac_f16_e32 v47, v59, v91
	v_fmac_f16_e32 v25, -0.5, v106
	ds_write_b16 v0, v105 offset:300
	ds_write_b16 v0, v31 offset:600
	v_add_f16_e32 v31, v62, v40
	v_fmac_f16_e32 v48, v54, v92
	v_fmac_f16_e32 v46, v58, v93
	;; [unrolled: 1-line block ×7, first 2 shown]
	v_fma_f16 v45, v13, v99, -v104
	v_fmac_f16_e32 v42, v16, v99
	v_add_f16_e32 v13, v20, v61
	v_sub_f16_e32 v16, v75, v67
	v_add_f16_e32 v17, v101, v84
	v_fmac_f16_e32 v20, -0.5, v14
	v_add_f16_e32 v54, v37, v39
	v_add_f16_e32 v57, v34, v35
	;; [unrolled: 1-line block ×4, first 2 shown]
	v_sub_f16_e32 v110, v76, v66
	v_fmac_f16_e32 v26, -0.5, v109
	v_add_f16_e32 v14, v19, v62
	v_add_f16_e32 v53, v21, v37
	v_sub_f16_e32 v52, v60, v47
	v_fmamk_f16 v87, v107, 0x3aee, v25
	v_fmac_f16_e32 v19, -0.5, v31
	v_sub_f16_e32 v55, v48, v46
	v_add_f16_e32 v56, v22, v34
	v_sub_f16_e32 v58, v12, v10
	v_add_f16_e32 v59, v23, v33
	v_sub_f16_e32 v86, v41, v11
	v_fmac_f16_e32 v25, 0xbaee, v107
	ds_write_b16 v74, v17
	v_fmamk_f16 v17, v16, 0x3aee, v20
	v_fmac_f16_e32 v21, -0.5, v54
	v_fmac_f16_e32 v22, -0.5, v57
	;; [unrolled: 1-line block ×3, first 2 shown]
	v_add_f16_e32 v38, v108, v65
	v_fmac_f16_e32 v20, 0xbaee, v16
	v_fmamk_f16 v88, v110, 0x3aee, v26
	v_add_f16_e32 v14, v14, v40
	v_add_f16_e32 v13, v13, v64
	v_fmac_f16_e32 v26, 0xbaee, v110
	v_add_f16_e32 v16, v53, v39
	ds_write_b16 v74, v87 offset:300
	ds_write_b16 v74, v25 offset:600
	;; [unrolled: 1-line block ×5, first 2 shown]
	ds_write_b16 v73, v13
	v_fmamk_f16 v13, v52, 0x3aee, v19
	v_add_f16_e32 v31, v56, v35
	v_add_f16_e32 v53, v59, v36
	v_fmac_f16_e32 v19, 0xbaee, v52
	v_fmamk_f16 v25, v55, 0x3aee, v21
	v_fmac_f16_e32 v21, 0xbaee, v55
	v_fmamk_f16 v26, v58, 0x3aee, v22
	;; [unrolled: 2-line block ×3, first 2 shown]
	v_fmac_f16_e32 v23, 0xbaee, v86
	ds_write_b16 v73, v17 offset:300
	ds_write_b16 v73, v20 offset:600
	;; [unrolled: 1-line block ×8, first 2 shown]
	ds_write_b16 v69, v31
	ds_write_b16 v69, v26 offset:300
	ds_write_b16 v69, v22 offset:600
	;; [unrolled: 1-line block ×5, first 2 shown]
	s_and_saveexec_b32 s1, s0
	s_cbranch_execz .LBB0_33
; %bb.32:
	v_add_f16_e32 v13, v44, v45
	v_add_f16_e32 v16, v18, v44
	v_sub_f16_e32 v14, v43, v42
	v_fma_f16 v13, -0.5, v13, v18
	v_add_f16_e32 v16, v16, v45
	v_fmamk_f16 v17, v14, 0xbaee, v13
	v_fmac_f16_e32 v13, 0x3aee, v14
	ds_write_b16 v6, v16 offset:3600
	ds_write_b16 v6, v13 offset:3900
	;; [unrolled: 1-line block ×3, first 2 shown]
.LBB0_33:
	s_or_b32 exec_lo, exec_lo, s1
	v_add_f16_e32 v13, v80, v77
	v_add_f16_e32 v14, v24, v80
	v_sub_f16_e32 v16, v81, v82
	v_add_f16_e32 v17, v79, v78
	v_sub_f16_e32 v18, v83, v84
	v_fmac_f16_e32 v24, -0.5, v13
	v_add_f16_e32 v13, v27, v79
	v_add_f16_e32 v52, v14, v77
	;; [unrolled: 1-line block ×3, first 2 shown]
	v_fmac_f16_e32 v27, -0.5, v17
	v_fmamk_f16 v53, v16, 0xbaee, v24
	v_add_f16_e32 v54, v13, v78
	v_add_f16_e32 v13, v76, v66
	v_fmac_f16_e32 v24, 0x3aee, v16
	v_add_f16_e32 v16, v75, v67
	v_add_f16_e32 v56, v14, v66
	;; [unrolled: 1-line block ×3, first 2 shown]
	v_fmac_f16_e32 v28, -0.5, v13
	v_sub_f16_e32 v13, v63, v65
	v_fmac_f16_e32 v29, -0.5, v16
	v_sub_f16_e32 v16, v61, v64
	v_add_f16_e32 v58, v14, v67
	v_add_f16_e32 v14, v30, v60
	v_fmamk_f16 v57, v13, 0xbaee, v28
	v_fmac_f16_e32 v28, 0x3aee, v13
	v_add_f16_e32 v13, v60, v47
	v_fmamk_f16 v59, v16, 0xbaee, v29
	v_fmac_f16_e32 v29, 0x3aee, v16
	v_add_f16_e32 v16, v48, v46
	v_add_f16_e32 v47, v14, v47
	v_fmac_f16_e32 v30, -0.5, v13
	v_sub_f16_e32 v13, v62, v40
	v_add_f16_e32 v14, v49, v48
	v_fmac_f16_e32 v49, -0.5, v16
	v_sub_f16_e32 v16, v37, v39
	v_fmamk_f16 v55, v18, 0xbaee, v27
	v_fmamk_f16 v48, v13, 0xbaee, v30
	v_fmac_f16_e32 v30, 0x3aee, v13
	v_add_f16_e32 v46, v14, v46
	v_add_f16_e32 v13, v12, v10
	;; [unrolled: 1-line block ×3, first 2 shown]
	v_fmamk_f16 v60, v16, 0xbaee, v49
	v_fmac_f16_e32 v49, 0x3aee, v16
	v_add_f16_e32 v12, v50, v12
	v_fmac_f16_e32 v50, -0.5, v13
	v_sub_f16_e32 v13, v34, v35
	v_add_f16_e32 v16, v51, v41
	v_fmac_f16_e32 v51, -0.5, v14
	v_sub_f16_e32 v14, v33, v36
	v_fmac_f16_e32 v27, 0x3aee, v18
	v_add_f16_e32 v61, v12, v10
	v_fmamk_f16 v62, v13, 0xbaee, v50
	v_fmac_f16_e32 v50, 0x3aee, v13
	v_add_f16_e32 v63, v16, v11
	v_fmamk_f16 v64, v14, 0xbaee, v51
	v_fmac_f16_e32 v51, 0x3aee, v14
	s_waitcnt lgkmcnt(0)
	s_barrier
	buffer_gl0_inv
	ds_read_u16 v18, v0 offset:1080
	ds_read_u16 v23, v0 offset:1260
	ds_read_u16 v10, v0
	ds_read_u16 v12, v0 offset:180
	ds_read_u16 v16, v0 offset:360
	;; [unrolled: 1-line block ×22, first 2 shown]
	s_waitcnt lgkmcnt(0)
	s_barrier
	buffer_gl0_inv
	ds_write_b16 v0, v52
	ds_write_b16 v0, v53 offset:300
	ds_write_b16 v0, v24 offset:600
	ds_write_b16 v74, v54
	ds_write_b16 v74, v55 offset:300
	ds_write_b16 v74, v27 offset:600
	;; [unrolled: 1-line block ×5, first 2 shown]
	ds_write_b16 v73, v58
	ds_write_b16 v73, v59 offset:300
	ds_write_b16 v73, v29 offset:600
	;; [unrolled: 1-line block ×8, first 2 shown]
	ds_write_b16 v69, v61
	ds_write_b16 v69, v62 offset:300
	ds_write_b16 v69, v50 offset:600
	;; [unrolled: 1-line block ×5, first 2 shown]
	s_and_saveexec_b32 s1, s0
	s_cbranch_execz .LBB0_35
; %bb.34:
	v_add_f16_e32 v24, v43, v42
	v_add_f16_e32 v27, v32, v43
	v_sub_f16_e32 v28, v44, v45
	v_fmac_f16_e32 v32, -0.5, v24
	v_add_f16_e32 v24, v27, v42
	v_fmamk_f16 v27, v28, 0xbaee, v32
	v_fmamk_f16 v28, v28, 0x3aee, v32
	ds_write_b16 v6, v24 offset:3600
	ds_write_b16 v6, v27 offset:3900
	;; [unrolled: 1-line block ×3, first 2 shown]
.LBB0_35:
	s_or_b32 exec_lo, exec_lo, s1
	s_waitcnt lgkmcnt(0)
	s_barrier
	buffer_gl0_inv
	s_and_saveexec_b32 s0, vcc_lo
	s_cbranch_execz .LBB0_37
; %bb.36:
	v_lshlrev_b32_e32 v5, 2, v5
	v_mov_b32_e32 v6, 0
	v_mad_u64_u32 v[58:59], null, s2, v3, 0
	v_mul_lo_u32 v4, s2, v4
	v_lshlrev_b64 v[1:2], 2, v[1:2]
	v_lshlrev_b64 v[27:28], 2, v[5:6]
	v_lshlrev_b32_e32 v5, 2, v9
	v_lshlrev_b64 v[42:43], 2, v[5:6]
	v_lshlrev_b32_e32 v5, 2, v7
	v_add_co_u32 v27, vcc_lo, s12, v27
	v_add_co_ci_u32_e32 v28, vcc_lo, s13, v28, vcc_lo
	v_lshlrev_b64 v[46:47], 2, v[5:6]
	v_lshlrev_b32_e32 v5, 2, v8
	v_add_co_u32 v42, vcc_lo, s12, v42
	global_load_dwordx4 v[27:30], v[27:28], off offset:1760
	v_add_co_ci_u32_e32 v43, vcc_lo, s13, v43, vcc_lo
	v_lshlrev_b64 v[7:8], 2, v[5:6]
	v_add_co_u32 v46, vcc_lo, s12, v46
	v_add_co_ci_u32_e32 v47, vcc_lo, s13, v47, vcc_lo
	global_load_dwordx4 v[42:45], v[42:43], off offset:1760
	v_add_co_u32 v7, vcc_lo, s12, v7
	v_add_co_ci_u32_e32 v8, vcc_lo, s13, v8, vcc_lo
	v_lshlrev_b32_e32 v5, 2, v15
	s_clause 0x1
	global_load_dwordx4 v[46:49], v[46:47], off offset:1760
	global_load_dwordx4 v[50:53], v[7:8], off offset:1760
	v_lshlrev_b64 v[7:8], 2, v[5:6]
	v_mul_lo_u32 v5, s3, v3
	v_add_co_u32 v7, vcc_lo, s12, v7
	v_add_co_ci_u32_e32 v8, vcc_lo, s13, v8, vcc_lo
	v_add3_u32 v59, v59, v4, v5
	global_load_dwordx4 v[54:57], v[7:8], off offset:1760
	ds_read_u16 v3, v0 offset:3420
	ds_read_u16 v7, v0 offset:4320
	;; [unrolled: 1-line block ×24, first 2 shown]
	ds_read_u16 v78, v0
	s_waitcnt vmcnt(4)
	v_lshrrev_b32_e32 v0, 16, v27
	v_lshrrev_b32_e32 v79, 16, v28
	;; [unrolled: 1-line block ×4, first 2 shown]
	s_waitcnt lgkmcnt(21)
	v_mul_f16_e32 v82, v28, v8
	s_waitcnt lgkmcnt(16)
	v_mul_f16_e32 v83, v27, v62
	v_mul_f16_e32 v84, v29, v3
	;; [unrolled: 1-line block ×4, first 2 shown]
	v_fmac_f16_e32 v82, v38, v79
	v_fmac_f16_e32 v83, v40, v0
	v_fmac_f16_e32 v84, v39, v80
	v_fmac_f16_e32 v85, v41, v81
	v_mul_f16_e32 v0, v0, v62
	v_mul_f16_e32 v5, v79, v8
	;; [unrolled: 1-line block ×3, first 2 shown]
	s_waitcnt vmcnt(3)
	v_lshrrev_b32_e32 v7, 16, v42
	v_lshrrev_b32_e32 v8, 16, v43
	;; [unrolled: 1-line block ×4, first 2 shown]
	v_mul_f16_e32 v80, v43, v9
	s_waitcnt lgkmcnt(15)
	v_mul_f16_e32 v81, v42, v63
	s_waitcnt lgkmcnt(10)
	v_mul_f16_e32 v86, v44, v68
	v_mul_f16_e32 v87, v45, v64
	v_sub_f16_e32 v88, v82, v83
	v_fma_f16 v27, v40, v27, -v0
	v_fma_f16 v40, v41, v30, -v4
	v_add_f16_e32 v0, v83, v85
	v_fma_f16 v5, v38, v28, -v5
	v_fma_f16 v29, v39, v29, -v3
	v_sub_f16_e32 v3, v83, v82
	v_sub_f16_e32 v4, v85, v84
	v_add_f16_e32 v28, v82, v84
	s_waitcnt lgkmcnt(4)
	v_add_f16_e32 v30, v83, v74
	v_sub_f16_e32 v39, v83, v85
	v_fmac_f16_e32 v80, v35, v8
	v_fmac_f16_e32 v81, v34, v7
	v_fmac_f16_e32 v86, v36, v62
	v_fmac_f16_e32 v87, v37, v79
	v_mul_f16_e32 v7, v7, v63
	v_mul_f16_e32 v41, v79, v64
	;; [unrolled: 1-line block ×4, first 2 shown]
	s_waitcnt vmcnt(2)
	v_lshrrev_b32_e32 v62, 16, v46
	v_lshrrev_b32_e32 v63, 16, v47
	;; [unrolled: 1-line block ×3, first 2 shown]
	v_mul_f16_e32 v79, v47, v24
	v_mul_f16_e32 v83, v46, v71
	;; [unrolled: 1-line block ×3, first 2 shown]
	v_sub_f16_e32 v89, v84, v85
	v_lshrrev_b32_e32 v68, 16, v49
	v_mul_f16_e32 v91, v49, v65
	v_fma_f16 v0, -0.5, v0, v74
	v_add_f16_e32 v93, v3, v4
	v_fma_f16 v3, -0.5, v28, v74
	v_add_f16_e32 v28, v82, v30
	v_sub_f16_e32 v30, v5, v27
	v_sub_f16_e32 v74, v29, v40
	v_fma_f16 v34, v34, v42, -v7
	v_fma_f16 v37, v37, v45, -v41
	s_waitcnt lgkmcnt(3)
	v_add_f16_e32 v45, v81, v75
	v_fmac_f16_e32 v79, v25, v63
	v_fmac_f16_e32 v83, v23, v62
	;; [unrolled: 1-line block ×3, first 2 shown]
	v_mul_f16_e32 v62, v62, v71
	v_mul_f16_e32 v24, v63, v24
	;; [unrolled: 1-line block ×3, first 2 shown]
	s_waitcnt vmcnt(1)
	v_lshrrev_b32_e32 v64, 16, v50
	v_lshrrev_b32_e32 v71, 16, v53
	v_mul_f16_e32 v101, v50, v72
	v_sub_f16_e32 v38, v82, v84
	v_add_f16_e32 v88, v88, v89
	v_sub_f16_e32 v89, v27, v40
	v_sub_f16_e32 v92, v5, v29
	v_add_f16_e32 v82, v27, v40
	v_sub_f16_e32 v94, v27, v5
	v_sub_f16_e32 v95, v40, v29
	v_add_f16_e32 v27, v33, v27
	v_add_f16_e32 v41, v81, v87
	v_fma_f16 v35, v35, v43, -v8
	v_fma_f16 v36, v36, v44, -v9
	v_sub_f16_e32 v42, v81, v80
	v_sub_f16_e32 v43, v87, v86
	v_add_f16_e32 v44, v80, v86
	v_fmac_f16_e32 v91, v31, v68
	v_mul_f16_e32 v65, v68, v65
	v_lshrrev_b32_e32 v68, 16, v51
	v_lshrrev_b32_e32 v69, 16, v52
	v_mul_f16_e32 v100, v51, v60
	v_mul_f16_e32 v102, v52, v70
	;; [unrolled: 1-line block ×3, first 2 shown]
	v_add_f16_e32 v84, v84, v28
	v_add_f16_e32 v74, v30, v74
	;; [unrolled: 1-line block ×4, first 2 shown]
	v_fmac_f16_e32 v101, v18, v64
	v_mul_f16_e32 v64, v64, v72
	v_mul_f16_e32 v66, v71, v66
	v_add_f16_e32 v96, v5, v29
	v_sub_f16_e32 v97, v80, v81
	v_sub_f16_e32 v98, v86, v87
	v_sub_f16_e32 v99, v80, v86
	v_fmamk_f16 v7, v92, 0xbb9c, v0
	v_fmac_f16_e32 v0, 0x3b9c, v92
	v_fma_f16 v8, -0.5, v82, v33
	v_add_f16_e32 v82, v94, v95
	v_add_f16_e32 v5, v5, v27
	v_sub_f16_e32 v94, v34, v37
	v_fma_f16 v27, -0.5, v41, v75
	v_add_f16_e32 v42, v42, v43
	v_fma_f16 v28, -0.5, v44, v75
	v_sub_f16_e32 v43, v35, v34
	v_sub_f16_e32 v44, v36, v37
	;; [unrolled: 1-line block ×4, first 2 shown]
	v_add_f16_e32 v34, v22, v34
	v_fma_f16 v46, v23, v46, -v62
	v_fma_f16 v31, v31, v49, -v65
	v_add_f16_e32 v49, v83, v91
	v_fma_f16 v47, v25, v47, -v24
	v_fma_f16 v48, v26, v48, -v63
	v_sub_f16_e32 v62, v83, v79
	v_sub_f16_e32 v63, v91, v90
	v_add_f16_e32 v65, v79, v90
	v_fmac_f16_e32 v100, v19, v68
	v_fmac_f16_e32 v102, v20, v69
	;; [unrolled: 1-line block ×3, first 2 shown]
	v_mul_f16_e32 v60, v68, v60
	v_mul_f16_e32 v68, v69, v70
	s_waitcnt vmcnt(0)
	v_lshrrev_b32_e32 v69, 16, v54
	v_lshrrev_b32_e32 v70, 16, v55
	v_mul_f16_e32 v106, v54, v73
	v_add_f16_e32 v25, v85, v84
	v_add_f16_e32 v84, v86, v30
	v_fma_f16 v30, -0.5, v45, v22
	v_fma_f16 v50, v18, v50, -v64
	v_fma_f16 v21, v21, v53, -v66
	v_sub_f16_e32 v81, v81, v87
	v_fmamk_f16 v4, v89, 0x3b9c, v3
	v_fmac_f16_e32 v3, 0xbb9c, v89
	v_fma_f16 v9, -0.5, v96, v33
	v_add_f16_e32 v33, v97, v98
	v_sub_f16_e32 v41, v35, v36
	v_sub_f16_e32 v96, v79, v83
	;; [unrolled: 1-line block ×3, first 2 shown]
	s_waitcnt lgkmcnt(2)
	v_add_f16_e32 v98, v83, v76
	v_lshrrev_b32_e32 v71, 16, v56
	v_lshrrev_b32_e32 v72, 16, v57
	v_mul_f16_e32 v105, v55, v61
	v_mul_f16_e32 v107, v56, v32
	;; [unrolled: 1-line block ×3, first 2 shown]
	v_fmac_f16_e32 v7, 0x38b4, v89
	v_fmac_f16_e32 v0, 0xb8b4, v89
	v_add_f16_e32 v5, v5, v29
	v_fmamk_f16 v26, v94, 0x3b9c, v28
	v_fmac_f16_e32 v28, 0xbb9c, v94
	v_add_f16_e32 v43, v43, v44
	v_add_f16_e32 v44, v75, v80
	;; [unrolled: 1-line block ×3, first 2 shown]
	v_sub_f16_e32 v45, v46, v31
	v_fma_f16 v49, -0.5, v49, v76
	v_sub_f16_e32 v75, v47, v48
	v_add_f16_e32 v62, v62, v63
	v_fma_f16 v63, -0.5, v65, v76
	v_sub_f16_e32 v76, v47, v46
	v_add_f16_e32 v80, v46, v31
	v_sub_f16_e32 v85, v46, v47
	v_add_f16_e32 v89, v47, v48
	v_add_f16_e32 v46, v16, v46
	;; [unrolled: 1-line block ×3, first 2 shown]
	v_fma_f16 v51, v19, v51, -v60
	v_fma_f16 v52, v20, v52, -v68
	v_sub_f16_e32 v60, v101, v100
	v_sub_f16_e32 v64, v103, v102
	v_add_f16_e32 v66, v100, v102
	s_waitcnt lgkmcnt(1)
	v_add_f16_e32 v68, v101, v77
	v_fmac_f16_e32 v106, v14, v69
	v_mul_f16_e32 v69, v69, v73
	v_mul_f16_e32 v61, v70, v61
	v_fmamk_f16 v20, v99, 0x3b9c, v30
	v_fmac_f16_e32 v30, 0xbb9c, v99
	v_add_f16_e32 v73, v50, v21
	v_add_f16_e32 v95, v35, v36
	v_sub_f16_e32 v104, v79, v90
	v_fmamk_f16 v29, v41, 0xbb9c, v27
	v_fmac_f16_e32 v27, 0x3b9c, v41
	v_add_f16_e32 v35, v96, v97
	v_add_f16_e32 v65, v79, v98
	v_sub_f16_e32 v79, v48, v31
	v_sub_f16_e32 v96, v100, v102
	v_fmac_f16_e32 v105, v17, v70
	v_fmac_f16_e32 v107, v13, v71
	v_fmac_f16_e32 v108, v11, v72
	v_mul_f16_e32 v32, v71, v32
	v_add_f16_e32 v18, v5, v40
	v_fmac_f16_e32 v26, 0x38b4, v41
	v_fmac_f16_e32 v28, 0xb8b4, v41
	v_add_f16_e32 v5, v34, v36
	v_fmamk_f16 v34, v75, 0xbb9c, v49
	v_fmac_f16_e32 v49, 0x3b9c, v75
	v_fma_f16 v41, -0.5, v80, v16
	v_fma_f16 v70, -0.5, v89, v16
	v_add_f16_e32 v16, v47, v46
	v_fma_f16 v53, -0.5, v53, v77
	v_sub_f16_e32 v71, v51, v52
	v_add_f16_e32 v60, v60, v64
	v_fma_f16 v64, -0.5, v66, v77
	v_add_f16_e32 v66, v100, v68
	v_fma_f16 v17, v17, v55, -v61
	v_fmac_f16_e32 v20, 0xb8b4, v81
	v_fmac_f16_e32 v30, 0x38b4, v81
	v_fma_f16 v55, -0.5, v73, v12
	v_sub_f16_e32 v83, v83, v91
	v_fmac_f16_e32 v4, 0x38b4, v92
	v_fmac_f16_e32 v3, 0xb8b4, v92
	v_fma_f16 v22, -0.5, v95, v22
	v_sub_f16_e32 v92, v100, v101
	v_sub_f16_e32 v95, v102, v103
	;; [unrolled: 1-line block ×3, first 2 shown]
	v_mul_f16_e32 v67, v72, v67
	v_add_f16_e32 v40, v76, v79
	v_sub_f16_e32 v47, v50, v21
	v_sub_f16_e32 v68, v51, v50
	;; [unrolled: 1-line block ×4, first 2 shown]
	v_add_f16_e32 v79, v51, v52
	v_add_f16_e32 v50, v12, v50
	v_fma_f16 v14, v14, v54, -v69
	v_add_f16_e32 v54, v106, v108
	v_fma_f16 v13, v13, v56, -v32
	v_fmac_f16_e32 v26, 0x34f2, v42
	v_fmac_f16_e32 v28, 0x34f2, v42
	v_add_f16_e32 v32, v5, v37
	v_fmac_f16_e32 v34, 0x38b4, v45
	v_fmac_f16_e32 v49, 0xb8b4, v45
	v_fmamk_f16 v37, v104, 0x3b9c, v41
	v_fmac_f16_e32 v41, 0xbb9c, v104
	v_add_f16_e32 v5, v16, v48
	v_fmamk_f16 v42, v71, 0xbb9c, v53
	v_fmac_f16_e32 v53, 0x3b9c, v71
	v_add_f16_e32 v16, v102, v66
	v_fmac_f16_e32 v20, 0x34f2, v43
	v_fmac_f16_e32 v30, 0x34f2, v43
	v_fmamk_f16 v43, v96, 0x3b9c, v55
	v_fmac_f16_e32 v55, 0xbb9c, v96
	v_sub_f16_e32 v86, v31, v48
	v_add_f16_e32 v46, v92, v95
	v_add_f16_e32 v48, v68, v72
	v_fma_f16 v61, -0.5, v79, v12
	v_add_f16_e32 v12, v51, v50
	v_fmac_f16_e32 v34, 0x34f2, v35
	v_fmac_f16_e32 v49, 0x34f2, v35
	;; [unrolled: 1-line block ×4, first 2 shown]
	v_add_f16_e32 v31, v5, v31
	v_fmac_f16_e32 v42, 0x38b4, v47
	v_fmac_f16_e32 v53, 0xb8b4, v47
	v_add_f16_e32 v35, v103, v16
	v_fmac_f16_e32 v43, 0xb8b4, v97
	v_fmac_f16_e32 v55, 0x38b4, v97
	v_fma_f16 v5, v11, v57, -v67
	s_waitcnt lgkmcnt(0)
	v_fma_f16 v16, -0.5, v54, v78
	v_sub_f16_e32 v11, v17, v13
	v_fmamk_f16 v36, v45, 0x3b9c, v63
	v_fmac_f16_e32 v63, 0xbb9c, v45
	v_fmamk_f16 v45, v47, 0x3b9c, v64
	v_fmac_f16_e32 v64, 0xbb9c, v47
	v_fmac_f16_e32 v37, 0x34f2, v40
	;; [unrolled: 1-line block ×7, first 2 shown]
	v_add_f16_e32 v12, v12, v52
	v_sub_f16_e32 v40, v105, v106
	v_sub_f16_e32 v46, v107, v108
	;; [unrolled: 1-line block ×3, first 2 shown]
	v_fmamk_f16 v48, v11, 0xbb9c, v16
	v_fmac_f16_e32 v16, 0x3b9c, v11
	v_sub_f16_e32 v77, v21, v52
	v_add_f16_e32 v21, v12, v21
	v_add_f16_e32 v12, v40, v46
	v_fmac_f16_e32 v48, 0x38b4, v47
	v_add_f16_e32 v40, v105, v107
	v_fmac_f16_e32 v16, 0xb8b4, v47
	v_sub_f16_e32 v46, v106, v105
	v_sub_f16_e32 v50, v108, v107
	v_fmac_f16_e32 v48, 0x34f2, v12
	v_fma_f16 v40, -0.5, v40, v78
	v_fmac_f16_e32 v16, 0x34f2, v12
	v_sub_f16_e32 v54, v13, v5
	v_add_f16_e32 v12, v46, v50
	v_add_f16_e32 v46, v106, v78
	v_fmamk_f16 v50, v47, 0x3b9c, v40
	v_fmac_f16_e32 v40, 0xbb9c, v47
	v_sub_f16_e32 v47, v17, v14
	v_add_f16_e32 v51, v14, v5
	v_add_f16_e32 v46, v105, v46
	v_fmac_f16_e32 v50, 0x38b4, v11
	v_fmac_f16_e32 v40, 0xb8b4, v11
	v_fmamk_f16 v19, v81, 0xbb9c, v22
	v_fma_f16 v51, -0.5, v51, v10
	v_add_f16_e32 v11, v107, v46
	v_add_f16_e32 v46, v47, v54
	v_add_f16_e32 v47, v17, v13
	v_fmac_f16_e32 v50, 0x34f2, v12
	v_fmac_f16_e32 v40, 0x34f2, v12
	v_add_f16_e32 v12, v108, v11
	v_mul_hi_u32 v11, 0x91a2b3c5, v15
	v_fma_f16 v47, -0.5, v47, v10
	v_add_f16_e32 v10, v10, v14
	v_fmac_f16_e32 v22, 0x3b9c, v81
	v_fmac_f16_e32 v19, 0xb8b4, v99
	;; [unrolled: 1-line block ×4, first 2 shown]
	v_add_f16_e32 v10, v17, v10
	v_lshrrev_b32_e32 v11, 8, v11
	v_fmac_f16_e32 v22, 0x38b4, v99
	v_sub_f16_e32 v57, v106, v108
	v_sub_f16_e32 v14, v14, v17
	;; [unrolled: 1-line block ×3, first 2 shown]
	v_add_f16_e32 v13, v10, v13
	v_mul_u32_u24_e32 v17, 0x1c2, v11
	v_lshlrev_b64 v[10:11], 2, v[58:59]
	v_fmac_f16_e32 v19, 0x34f2, v44
	v_fmac_f16_e32 v22, 0x34f2, v44
	v_fmamk_f16 v44, v97, 0xbb9c, v61
	v_fmac_f16_e32 v61, 0x3b9c, v97
	v_fmac_f16_e32 v45, 0x34f2, v60
	;; [unrolled: 1-line block ×3, first 2 shown]
	v_sub_f16_e32 v52, v105, v107
	v_fmamk_f16 v60, v57, 0xbb9c, v47
	v_fmac_f16_e32 v47, 0x3b9c, v57
	v_add_f16_e32 v56, v76, v77
	v_fmac_f16_e32 v44, 0xb8b4, v96
	v_fmac_f16_e32 v61, 0x38b4, v96
	v_add_f16_e32 v5, v13, v5
	v_sub_nc_u32_e32 v13, v15, v17
	v_add_co_u32 v10, vcc_lo, s10, v10
	v_add_nc_u32_e32 v17, 0x5a, v15
	v_add_f16_e32 v14, v14, v54
	v_fmac_f16_e32 v47, 0x38b4, v52
	v_add_co_ci_u32_e32 v11, vcc_lo, s11, v11, vcc_lo
	v_fmac_f16_e32 v44, 0x34f2, v56
	v_fmac_f16_e32 v61, 0x34f2, v56
	v_fmamk_f16 v56, v52, 0x3b9c, v51
	v_fmac_f16_e32 v51, 0xbb9c, v52
	v_fmac_f16_e32 v60, 0xb8b4, v52
	v_add_co_u32 v52, vcc_lo, v10, v1
	v_mul_hi_u32 v10, 0x91a2b3c5, v17
	v_lshlrev_b32_e32 v13, 2, v13
	v_fmac_f16_e32 v47, 0x34f2, v14
	v_add_co_ci_u32_e32 v54, vcc_lo, v11, v2, vcc_lo
	v_pack_b32_f16 v5, v5, v12
	v_add_co_u32 v1, vcc_lo, v52, v13
	v_add_co_ci_u32_e32 v2, vcc_lo, 0, v54, vcc_lo
	v_pack_b32_f16 v11, v47, v40
	v_lshrrev_b32_e32 v40, 8, v10
	global_store_dword v[1:2], v5, off
	global_store_dword v[1:2], v11, off offset:1800
	v_fmac_f16_e32 v51, 0x38b4, v57
	v_mul_u32_u24_e32 v5, 0x1c2, v40
	v_fmac_f16_e32 v56, 0xb8b4, v57
	v_add_co_u32 v10, vcc_lo, 0x800, v1
	v_fmac_f16_e32 v51, 0x34f2, v46
	v_sub_nc_u32_e32 v5, v17, v5
	v_fmac_f16_e32 v56, 0x34f2, v46
	v_add_co_ci_u32_e32 v11, vcc_lo, 0, v2, vcc_lo
	v_fmac_f16_e32 v60, 0x34f2, v14
	v_mad_u32_u24 v5, 0x8ca, v40, v5
	v_pack_b32_f16 v14, v51, v16
	v_add_co_u32 v12, vcc_lo, 0x1000, v1
	v_add_co_ci_u32_e32 v13, vcc_lo, 0, v2, vcc_lo
	v_add_co_u32 v1, vcc_lo, 0x1800, v1
	v_pack_b32_f16 v46, v56, v48
	v_add_nc_u32_e32 v16, 0x1c2, v5
	v_mov_b32_e32 v17, v6
	v_pack_b32_f16 v47, v60, v50
	v_add_co_ci_u32_e32 v2, vcc_lo, 0, v2, vcc_lo
	global_store_dword v[10:11], v14, off offset:1552
	v_lshlrev_b64 v[10:11], 2, v[5:6]
	v_add_nc_u32_e32 v14, 0xb4, v15
	global_store_dword v[12:13], v46, off offset:1304
	global_store_dword v[1:2], v47, off offset:1056
	v_lshlrev_b64 v[1:2], 2, v[16:17]
	v_pack_b32_f16 v21, v21, v35
	v_add_nc_u32_e32 v12, 0x384, v5
	v_mul_hi_u32 v35, 0x91a2b3c5, v14
	v_add_co_u32 v10, vcc_lo, v52, v10
	v_add_co_ci_u32_e32 v11, vcc_lo, v54, v11, vcc_lo
	v_mov_b32_e32 v13, v6
	v_add_co_u32 v1, vcc_lo, v52, v1
	v_add_co_ci_u32_e32 v2, vcc_lo, v54, v2, vcc_lo
	v_pack_b32_f16 v40, v61, v64
	v_add_nc_u32_e32 v16, 0x546, v5
	global_store_dword v[10:11], v21, off
	v_lshrrev_b32_e32 v21, 8, v35
	v_lshlrev_b64 v[10:11], 2, v[12:13]
	v_add_nc_u32_e32 v5, 0x708, v5
	global_store_dword v[1:2], v40, off
	v_lshlrev_b64 v[1:2], 2, v[16:17]
	v_mul_u32_u24_e32 v16, 0x1c2, v21
	v_pack_b32_f16 v35, v55, v53
	v_add_co_u32 v10, vcc_lo, v52, v10
	v_lshlrev_b64 v[12:13], 2, v[5:6]
	v_add_co_ci_u32_e32 v11, vcc_lo, v54, v11, vcc_lo
	v_sub_nc_u32_e32 v5, v14, v16
	v_add_co_u32 v1, vcc_lo, v52, v1
	v_add_co_ci_u32_e32 v2, vcc_lo, v54, v2, vcc_lo
	v_add_co_u32 v12, vcc_lo, v52, v12
	v_pack_b32_f16 v14, v43, v42
	v_mad_u32_u24 v5, 0x8ca, v21, v5
	v_add_co_ci_u32_e32 v13, vcc_lo, v54, v13, vcc_lo
	v_pack_b32_f16 v21, v44, v45
	v_fmamk_f16 v24, v38, 0x3b9c, v8
	v_fmac_f16_e32 v8, 0xbb9c, v38
	global_store_dword v[10:11], v35, off
	global_store_dword v[1:2], v14, off
	;; [unrolled: 1-line block ×3, first 2 shown]
	v_add_nc_u32_e32 v14, 0x10e, v15
	v_fmamk_f16 v23, v39, 0xbb9c, v9
	v_fmac_f16_e32 v9, 0x3b9c, v39
	v_fmac_f16_e32 v24, 0xb8b4, v39
	;; [unrolled: 1-line block ×5, first 2 shown]
	v_add_f16_e32 v39, v90, v65
	v_lshlrev_b64 v[10:11], 2, v[5:6]
	v_mul_hi_u32 v13, 0x91a2b3c5, v14
	v_fmac_f16_e32 v29, 0x34f2, v33
	v_fmac_f16_e32 v27, 0x34f2, v33
	v_add_f16_e32 v33, v91, v39
	v_fmamk_f16 v39, v83, 0xbb9c, v70
	v_fmac_f16_e32 v70, 0x3b9c, v83
	v_add_nc_u32_e32 v16, 0x1c2, v5
	v_add_co_u32 v10, vcc_lo, v52, v10
	v_add_f16_e32 v65, v85, v86
	v_fmac_f16_e32 v63, 0xb8b4, v75
	v_fmac_f16_e32 v70, 0x38b4, v104
	v_add_co_ci_u32_e32 v11, vcc_lo, v54, v11, vcc_lo
	v_pack_b32_f16 v21, v31, v33
	v_lshrrev_b32_e32 v33, 8, v13
	v_lshlrev_b64 v[1:2], 2, v[16:17]
	v_fmac_f16_e32 v63, 0x34f2, v62
	v_fmac_f16_e32 v70, 0x34f2, v65
	global_store_dword v[10:11], v21, off
	v_mul_u32_u24_e32 v21, 0x1c2, v33
	v_add_nc_u32_e32 v12, 0x384, v5
	v_mov_b32_e32 v13, v6
	v_add_co_u32 v1, vcc_lo, v52, v1
	v_add_co_ci_u32_e32 v2, vcc_lo, v54, v2, vcc_lo
	v_pack_b32_f16 v31, v70, v63
	v_add_nc_u32_e32 v16, 0x546, v5
	v_add_nc_u32_e32 v5, 0x708, v5
	v_sub_nc_u32_e32 v14, v14, v21
	v_lshlrev_b64 v[10:11], 2, v[12:13]
	global_store_dword v[1:2], v31, off
	v_lshlrev_b64 v[1:2], 2, v[16:17]
	v_lshlrev_b64 v[12:13], 2, v[5:6]
	v_mad_u32_u24 v5, 0x8ca, v33, v14
	v_fmac_f16_e32 v36, 0x38b4, v75
	v_fmac_f16_e32 v39, 0xb8b4, v104
	v_add_co_u32 v10, vcc_lo, v52, v10
	v_add_co_ci_u32_e32 v11, vcc_lo, v54, v11, vcc_lo
	v_add_co_u32 v1, vcc_lo, v52, v1
	v_lshlrev_b64 v[16:17], 2, v[5:6]
	v_fmac_f16_e32 v36, 0x34f2, v62
	v_fmac_f16_e32 v39, 0x34f2, v65
	v_add_co_ci_u32_e32 v2, vcc_lo, v54, v2, vcc_lo
	v_fmac_f16_e32 v23, 0xb8b4, v38
	v_fmac_f16_e32 v9, 0x38b4, v38
	v_add_f16_e32 v38, v87, v84
	v_add_co_u32 v12, vcc_lo, v52, v12
	v_pack_b32_f16 v21, v41, v49
	v_add_co_ci_u32_e32 v13, vcc_lo, v54, v13, vcc_lo
	v_pack_b32_f16 v14, v37, v34
	v_add_co_u32 v16, vcc_lo, v52, v16
	v_pack_b32_f16 v33, v39, v36
	v_add_co_ci_u32_e32 v17, vcc_lo, v54, v17, vcc_lo
	v_pack_b32_f16 v34, v32, v38
	global_store_dword v[10:11], v21, off
	global_store_dword v[1:2], v14, off
	;; [unrolled: 1-line block ×4, first 2 shown]
	v_add_nc_u32_e32 v16, 0x168, v15
	v_add_nc_u32_e32 v31, 0x1c2, v5
	v_mov_b32_e32 v32, v6
	v_add_nc_u32_e32 v10, 0x384, v5
	v_mov_b32_e32 v11, v6
	v_mul_hi_u32 v14, 0x91a2b3c5, v16
	v_add_nc_u32_e32 v12, 0x546, v5
	v_add_nc_u32_e32 v5, 0x708, v5
	v_lshlrev_b64 v[1:2], 2, v[31:32]
	v_mov_b32_e32 v13, v6
	v_lshlrev_b64 v[10:11], 2, v[10:11]
	v_pack_b32_f16 v17, v22, v28
	v_pack_b32_f16 v22, v30, v27
	v_lshrrev_b32_e32 v21, 8, v14
	v_lshlrev_b64 v[14:15], 2, v[5:6]
	v_add_co_u32 v1, vcc_lo, v52, v1
	v_lshlrev_b64 v[12:13], 2, v[12:13]
	v_mul_u32_u24_e32 v5, 0x1c2, v21
	v_add_co_ci_u32_e32 v2, vcc_lo, v54, v2, vcc_lo
	v_add_co_u32 v10, vcc_lo, v52, v10
	v_sub_nc_u32_e32 v5, v16, v5
	v_add_co_ci_u32_e32 v11, vcc_lo, v54, v11, vcc_lo
	v_add_co_u32 v12, vcc_lo, v52, v12
	v_add_co_ci_u32_e32 v13, vcc_lo, v54, v13, vcc_lo
	v_mad_u32_u24 v5, 0x8ca, v21, v5
	v_add_co_u32 v14, vcc_lo, v52, v14
	v_pack_b32_f16 v20, v20, v29
	v_add_co_ci_u32_e32 v15, vcc_lo, v54, v15, vcc_lo
	v_pack_b32_f16 v16, v19, v26
	global_store_dword v[1:2], v17, off
	global_store_dword v[10:11], v22, off
	;; [unrolled: 1-line block ×4, first 2 shown]
	v_add_nc_u32_e32 v10, 0x1c2, v5
	v_mov_b32_e32 v11, v6
	v_lshlrev_b64 v[1:2], 2, v[5:6]
	v_add_nc_u32_e32 v12, 0x384, v5
	v_mov_b32_e32 v13, v6
	v_add_nc_u32_e32 v14, 0x546, v5
	v_lshlrev_b64 v[10:11], 2, v[10:11]
	v_mov_b32_e32 v15, v6
	v_add_co_u32 v1, vcc_lo, v52, v1
	v_lshlrev_b64 v[12:13], 2, v[12:13]
	v_add_nc_u32_e32 v5, 0x708, v5
	v_add_co_ci_u32_e32 v2, vcc_lo, v54, v2, vcc_lo
	v_add_co_u32 v10, vcc_lo, v52, v10
	v_lshlrev_b64 v[14:15], 2, v[14:15]
	v_fmac_f16_e32 v0, 0x34f2, v88
	v_fmac_f16_e32 v8, 0x34f2, v74
	v_add_co_ci_u32_e32 v11, vcc_lo, v54, v11, vcc_lo
	v_fmac_f16_e32 v3, 0x34f2, v93
	v_fmac_f16_e32 v9, 0x34f2, v82
	v_add_co_u32 v12, vcc_lo, v52, v12
	v_lshlrev_b64 v[5:6], 2, v[5:6]
	v_fmac_f16_e32 v7, 0x34f2, v88
	v_fmac_f16_e32 v24, 0x34f2, v74
	v_add_co_ci_u32_e32 v13, vcc_lo, v54, v13, vcc_lo
	v_fmac_f16_e32 v4, 0x34f2, v93
	v_fmac_f16_e32 v23, 0x34f2, v82
	v_pack_b32_f16 v0, v8, v0
	v_add_co_u32 v8, vcc_lo, v52, v14
	v_pack_b32_f16 v16, v18, v25
	v_pack_b32_f16 v3, v9, v3
	v_add_co_ci_u32_e32 v9, vcc_lo, v54, v15, vcc_lo
	v_add_co_u32 v5, vcc_lo, v52, v5
	v_pack_b32_f16 v7, v24, v7
	v_add_co_ci_u32_e32 v6, vcc_lo, v54, v6, vcc_lo
	v_pack_b32_f16 v4, v23, v4
	global_store_dword v[1:2], v16, off
	global_store_dword v[10:11], v3, off
	;; [unrolled: 1-line block ×5, first 2 shown]
.LBB0_37:
	s_endpgm
	.section	.rodata,"a",@progbits
	.p2align	6, 0x0
	.amdhsa_kernel fft_rtc_fwd_len2250_factors_10_3_5_3_5_wgs_90_tpt_90_halfLds_half_op_CI_CI_unitstride_sbrr_dirReg
		.amdhsa_group_segment_fixed_size 0
		.amdhsa_private_segment_fixed_size 0
		.amdhsa_kernarg_size 104
		.amdhsa_user_sgpr_count 6
		.amdhsa_user_sgpr_private_segment_buffer 1
		.amdhsa_user_sgpr_dispatch_ptr 0
		.amdhsa_user_sgpr_queue_ptr 0
		.amdhsa_user_sgpr_kernarg_segment_ptr 1
		.amdhsa_user_sgpr_dispatch_id 0
		.amdhsa_user_sgpr_flat_scratch_init 0
		.amdhsa_user_sgpr_private_segment_size 0
		.amdhsa_wavefront_size32 1
		.amdhsa_uses_dynamic_stack 0
		.amdhsa_system_sgpr_private_segment_wavefront_offset 0
		.amdhsa_system_sgpr_workgroup_id_x 1
		.amdhsa_system_sgpr_workgroup_id_y 0
		.amdhsa_system_sgpr_workgroup_id_z 0
		.amdhsa_system_sgpr_workgroup_info 0
		.amdhsa_system_vgpr_workitem_id 0
		.amdhsa_next_free_vgpr 131
		.amdhsa_next_free_sgpr 27
		.amdhsa_reserve_vcc 1
		.amdhsa_reserve_flat_scratch 0
		.amdhsa_float_round_mode_32 0
		.amdhsa_float_round_mode_16_64 0
		.amdhsa_float_denorm_mode_32 3
		.amdhsa_float_denorm_mode_16_64 3
		.amdhsa_dx10_clamp 1
		.amdhsa_ieee_mode 1
		.amdhsa_fp16_overflow 0
		.amdhsa_workgroup_processor_mode 1
		.amdhsa_memory_ordered 1
		.amdhsa_forward_progress 0
		.amdhsa_shared_vgpr_count 0
		.amdhsa_exception_fp_ieee_invalid_op 0
		.amdhsa_exception_fp_denorm_src 0
		.amdhsa_exception_fp_ieee_div_zero 0
		.amdhsa_exception_fp_ieee_overflow 0
		.amdhsa_exception_fp_ieee_underflow 0
		.amdhsa_exception_fp_ieee_inexact 0
		.amdhsa_exception_int_div_zero 0
	.end_amdhsa_kernel
	.text
.Lfunc_end0:
	.size	fft_rtc_fwd_len2250_factors_10_3_5_3_5_wgs_90_tpt_90_halfLds_half_op_CI_CI_unitstride_sbrr_dirReg, .Lfunc_end0-fft_rtc_fwd_len2250_factors_10_3_5_3_5_wgs_90_tpt_90_halfLds_half_op_CI_CI_unitstride_sbrr_dirReg
                                        ; -- End function
	.section	.AMDGPU.csdata,"",@progbits
; Kernel info:
; codeLenInByte = 18396
; NumSgprs: 29
; NumVgprs: 131
; ScratchSize: 0
; MemoryBound: 0
; FloatMode: 240
; IeeeMode: 1
; LDSByteSize: 0 bytes/workgroup (compile time only)
; SGPRBlocks: 3
; VGPRBlocks: 16
; NumSGPRsForWavesPerEU: 29
; NumVGPRsForWavesPerEU: 131
; Occupancy: 7
; WaveLimiterHint : 1
; COMPUTE_PGM_RSRC2:SCRATCH_EN: 0
; COMPUTE_PGM_RSRC2:USER_SGPR: 6
; COMPUTE_PGM_RSRC2:TRAP_HANDLER: 0
; COMPUTE_PGM_RSRC2:TGID_X_EN: 1
; COMPUTE_PGM_RSRC2:TGID_Y_EN: 0
; COMPUTE_PGM_RSRC2:TGID_Z_EN: 0
; COMPUTE_PGM_RSRC2:TIDIG_COMP_CNT: 0
	.text
	.p2alignl 6, 3214868480
	.fill 48, 4, 3214868480
	.type	__hip_cuid_257962f4a9109952,@object ; @__hip_cuid_257962f4a9109952
	.section	.bss,"aw",@nobits
	.globl	__hip_cuid_257962f4a9109952
__hip_cuid_257962f4a9109952:
	.byte	0                               ; 0x0
	.size	__hip_cuid_257962f4a9109952, 1

	.ident	"AMD clang version 19.0.0git (https://github.com/RadeonOpenCompute/llvm-project roc-6.4.0 25133 c7fe45cf4b819c5991fe208aaa96edf142730f1d)"
	.section	".note.GNU-stack","",@progbits
	.addrsig
	.addrsig_sym __hip_cuid_257962f4a9109952
	.amdgpu_metadata
---
amdhsa.kernels:
  - .args:
      - .actual_access:  read_only
        .address_space:  global
        .offset:         0
        .size:           8
        .value_kind:     global_buffer
      - .offset:         8
        .size:           8
        .value_kind:     by_value
      - .actual_access:  read_only
        .address_space:  global
        .offset:         16
        .size:           8
        .value_kind:     global_buffer
      - .actual_access:  read_only
        .address_space:  global
        .offset:         24
        .size:           8
        .value_kind:     global_buffer
      - .actual_access:  read_only
        .address_space:  global
        .offset:         32
        .size:           8
        .value_kind:     global_buffer
      - .offset:         40
        .size:           8
        .value_kind:     by_value
      - .actual_access:  read_only
        .address_space:  global
        .offset:         48
        .size:           8
        .value_kind:     global_buffer
      - .actual_access:  read_only
        .address_space:  global
        .offset:         56
        .size:           8
        .value_kind:     global_buffer
      - .offset:         64
        .size:           4
        .value_kind:     by_value
      - .actual_access:  read_only
        .address_space:  global
        .offset:         72
        .size:           8
        .value_kind:     global_buffer
      - .actual_access:  read_only
        .address_space:  global
        .offset:         80
        .size:           8
        .value_kind:     global_buffer
      - .actual_access:  read_only
        .address_space:  global
        .offset:         88
        .size:           8
        .value_kind:     global_buffer
      - .actual_access:  write_only
        .address_space:  global
        .offset:         96
        .size:           8
        .value_kind:     global_buffer
    .group_segment_fixed_size: 0
    .kernarg_segment_align: 8
    .kernarg_segment_size: 104
    .language:       OpenCL C
    .language_version:
      - 2
      - 0
    .max_flat_workgroup_size: 90
    .name:           fft_rtc_fwd_len2250_factors_10_3_5_3_5_wgs_90_tpt_90_halfLds_half_op_CI_CI_unitstride_sbrr_dirReg
    .private_segment_fixed_size: 0
    .sgpr_count:     29
    .sgpr_spill_count: 0
    .symbol:         fft_rtc_fwd_len2250_factors_10_3_5_3_5_wgs_90_tpt_90_halfLds_half_op_CI_CI_unitstride_sbrr_dirReg.kd
    .uniform_work_group_size: 1
    .uses_dynamic_stack: false
    .vgpr_count:     131
    .vgpr_spill_count: 0
    .wavefront_size: 32
    .workgroup_processor_mode: 1
amdhsa.target:   amdgcn-amd-amdhsa--gfx1030
amdhsa.version:
  - 1
  - 2
...

	.end_amdgpu_metadata
